;; amdgpu-corpus repo=zjin-lcf/HeCBench kind=compiled arch=gfx1030 opt=O3
	.amdgcn_target "amdgcn-amd-amdhsa--gfx1030"
	.amdhsa_code_object_version 6
	.text
	.protected	_Z14calculateForcePA400_A400_dS1_S1_S1_dddddd ; -- Begin function _Z14calculateForcePA400_A400_dS1_S1_S1_dddddd
	.globl	_Z14calculateForcePA400_A400_dS1_S1_S1_dddddd
	.p2align	8
	.type	_Z14calculateForcePA400_A400_dS1_S1_S1_dddddd,@function
_Z14calculateForcePA400_A400_dS1_S1_S1_dddddd: ; @_Z14calculateForcePA400_A400_dS1_S1_S1_dddddd
; %bb.0:
	s_load_dwordx2 s[0:1], s[4:5], 0x5c
	s_waitcnt lgkmcnt(0)
	s_lshr_b32 s2, s0, 16
	s_and_b32 s0, s0, 0xffff
	s_and_b32 s1, s1, 0xffff
	v_mad_u64_u32 v[3:4], null, s6, s0, v[0:1]
	v_mad_u64_u32 v[0:1], null, s7, s2, v[1:2]
	;; [unrolled: 1-line block ×3, first 2 shown]
	s_load_dwordx16 s[8:23], s[4:5], 0x0
	v_cmp_eq_u32_e64 s0, 0, v0
	v_cmp_eq_u32_e64 s2, 0, v3
	v_max3_u32 v2, v3, v0, v1
	v_cmp_eq_u32_e32 vcc_lo, 0, v1
	v_cmp_lt_u32_e64 s1, 0x18e, v2
	s_or_b32 s0, vcc_lo, s0
	v_mov_b32_e32 v2, 0
	s_or_b32 s1, s0, s1
	s_mov_b32 s0, 0
	s_or_b32 s1, s2, s1
	s_and_saveexec_b32 s2, s1
	s_xor_b32 s2, exec_lo, s2
	s_cbranch_execz .LBB0_2
; %bb.1:
	s_waitcnt lgkmcnt(0)
	v_mad_u64_u32 v[5:6], null, 0x138800, v1, s[10:11]
	v_mad_u64_u32 v[7:8], null, 0x138800, v1, s[12:13]
	v_mov_b32_e32 v4, v2
	s_mov_b32 s1, s0
	v_mov_b32_e32 v12, s1
	v_mad_u64_u32 v[5:6], null, 0xc80, v0, v[5:6]
	v_lshlrev_b64 v[9:10], 3, v[3:4]
	v_mad_u64_u32 v[7:8], null, 0xc80, v0, v[7:8]
	v_mov_b32_e32 v11, s0
	v_add_co_u32 v5, vcc_lo, v5, v9
	v_add_co_ci_u32_e64 v6, null, v6, v10, vcc_lo
	v_add_co_u32 v7, vcc_lo, v7, v9
	v_add_co_ci_u32_e64 v8, null, v8, v10, vcc_lo
	global_store_dwordx2 v[5:6], v[11:12], off
	global_store_dwordx2 v[7:8], v[11:12], off
.LBB0_2:
	s_or_saveexec_b32 s6, s2
	v_mov_b32_e32 v5, 0
	v_mov_b32_e32 v6, 0
	s_xor_b32 exec_lo, exec_lo, s6
	s_cbranch_execz .LBB0_14
; %bb.3:
	s_waitcnt lgkmcnt(0)
	v_mad_u64_u32 v[5:6], null, 0x138800, v1, s[8:9]
	v_mov_b32_e32 v2, 0
	v_add_f64 v[19:20], s[16:17], s[16:17]
	v_add_f64 v[23:24], s[20:21], s[20:21]
	v_mov_b32_e32 v4, v2
	v_mad_u64_u32 v[7:8], null, 0xc80, v0, v[5:6]
	v_lshlrev_b64 v[5:6], 3, v[3:4]
	v_add_co_u32 v7, vcc_lo, v7, v5
	v_add_co_ci_u32_e64 v8, null, v8, v6, vcc_lo
	v_add_co_u32 v9, vcc_lo, 0x138800, v7
	v_add_co_ci_u32_e64 v10, null, 0, v8, vcc_lo
	v_add_co_u32 v11, vcc_lo, 0xffec7800, v7
	v_add_co_ci_u32_e64 v12, null, -1, v8, vcc_lo
	v_add_co_u32 v13, vcc_lo, 0x800, v7
	v_add_co_ci_u32_e64 v14, null, 0, v8, vcc_lo
	v_add_co_u32 v15, vcc_lo, 0xfffff800, v7
	v_add_co_ci_u32_e64 v16, null, -1, v8, vcc_lo
	s_clause 0x5
	global_load_dwordx2 v[9:10], v[9:10], off
	global_load_dwordx2 v[11:12], v[11:12], off
	global_load_dwordx2 v[13:14], v[13:14], off offset:1152
	global_load_dwordx2 v[15:16], v[15:16], off offset:-1152
	global_load_dwordx2 v[17:18], v[7:8], off offset:8
	global_load_dwordx2 v[7:8], v[7:8], off offset:-8
	s_waitcnt vmcnt(4)
	v_add_f64 v[9:10], v[9:10], -v[11:12]
	v_add_f64 v[11:12], s[18:19], s[18:19]
	s_waitcnt vmcnt(2)
	v_add_f64 v[13:14], v[13:14], -v[15:16]
	s_waitcnt vmcnt(0)
	v_add_f64 v[7:8], v[17:18], -v[7:8]
	v_div_scale_f64 v[15:16], null, v[19:20], v[19:20], v[9:10]
	v_div_scale_f64 v[21:22], null, v[11:12], v[11:12], v[13:14]
	;; [unrolled: 1-line block ×3, first 2 shown]
	v_div_scale_f64 v[41:42], s1, v[7:8], v[23:24], v[7:8]
	v_rcp_f64_e32 v[17:18], v[15:16]
	v_rcp_f64_e32 v[25:26], v[21:22]
	;; [unrolled: 1-line block ×3, first 2 shown]
	v_fma_f64 v[29:30], -v[15:16], v[17:18], 1.0
	v_fma_f64 v[31:32], -v[21:22], v[25:26], 1.0
	v_fma_f64 v[17:18], v[17:18], v[29:30], v[17:18]
	v_fma_f64 v[29:30], -v[27:28], v[33:34], 1.0
	v_fma_f64 v[25:26], v[25:26], v[31:32], v[25:26]
	;; [unrolled: 2-line block ×3, first 2 shown]
	v_fma_f64 v[35:36], -v[21:22], v[25:26], 1.0
	v_div_scale_f64 v[33:34], vcc_lo, v[9:10], v[19:20], v[9:10]
	v_fma_f64 v[17:18], v[17:18], v[31:32], v[17:18]
	v_div_scale_f64 v[31:32], s0, v[13:14], v[11:12], v[13:14]
	v_fma_f64 v[25:26], v[25:26], v[35:36], v[25:26]
	v_fma_f64 v[35:36], -v[27:28], v[29:30], 1.0
	v_mul_f64 v[37:38], v[33:34], v[17:18]
	v_mul_f64 v[39:40], v[31:32], v[25:26]
	v_fma_f64 v[29:30], v[29:30], v[35:36], v[29:30]
	v_fma_f64 v[15:16], -v[15:16], v[37:38], v[33:34]
	v_fma_f64 v[21:22], -v[21:22], v[39:40], v[31:32]
	v_mul_f64 v[31:32], v[41:42], v[29:30]
	v_div_fmas_f64 v[15:16], v[15:16], v[17:18], v[37:38]
	s_mov_b32 vcc_lo, s0
	v_div_fmas_f64 v[17:18], v[21:22], v[25:26], v[39:40]
	v_fma_f64 v[21:22], -v[27:28], v[31:32], v[41:42]
	s_mov_b32 vcc_lo, s1
	v_div_fixup_f64 v[19:20], v[15:16], v[19:20], v[9:10]
	v_div_fixup_f64 v[13:14], v[17:18], v[11:12], v[13:14]
	v_div_fmas_f64 v[11:12], v[21:22], v[29:30], v[31:32]
                                        ; implicit-def: $vgpr31_vgpr32
	v_cmp_neq_f64_e64 s0, 0, v[19:20]
	v_mul_f64 v[9:10], v[13:14], v[13:14]
	v_div_fixup_f64 v[7:8], v[11:12], v[23:24], v[7:8]
	v_cmp_neq_f64_e64 s1, 0, v[13:14]
	v_fma_f64 v[11:12], v[19:20], v[19:20], v[9:10]
	v_cmp_neq_f64_e64 s2, 0, v[7:8]
	s_or_b32 s3, s0, s1
	v_fma_f64 v[23:24], v[7:8], v[7:8], v[11:12]
	s_or_b32 s7, s3, s2
	s_xor_b32 s3, s7, -1
	s_and_saveexec_b32 s8, s3
	s_xor_b32 s3, exec_lo, s8
; %bb.4:
	s_mov_b32 s8, 0xaaaaaaab
	s_mov_b32 s9, 0xbffaaaaa
	v_fma_f64 v[31:32], s[22:23], s[8:9], 1.0
; %bb.5:
	s_or_saveexec_b32 s8, s3
	v_mul_f64 v[21:22], v[19:20], v[19:20]
	v_mul_f64 v[17:18], v[9:10], v[9:10]
	;; [unrolled: 1-line block ×4, first 2 shown]
	v_fma_f64 v[17:18], v[21:22], v[21:22], v[17:18]
	s_xor_b32 exec_lo, exec_lo, s8
	s_cbranch_execz .LBB0_7
; %bb.6:
	v_fma_f64 v[27:28], 0xc0080000, s[22:23], 1.0
	v_mul_f64 v[29:30], s[22:23], 4.0
	v_fma_f64 v[31:32], v[15:16], v[15:16], v[17:18]
	v_div_scale_f64 v[33:34], null, v[27:28], v[27:28], v[29:30]
	v_div_scale_f64 v[35:36], null, v[25:26], v[25:26], v[31:32]
	v_div_scale_f64 v[45:46], vcc_lo, v[29:30], v[27:28], v[29:30]
	v_rcp_f64_e32 v[37:38], v[33:34]
	v_rcp_f64_e32 v[39:40], v[35:36]
	v_fma_f64 v[41:42], -v[33:34], v[37:38], 1.0
	v_fma_f64 v[43:44], -v[35:36], v[39:40], 1.0
	v_fma_f64 v[37:38], v[37:38], v[41:42], v[37:38]
	v_fma_f64 v[39:40], v[39:40], v[43:44], v[39:40]
	v_fma_f64 v[41:42], -v[33:34], v[37:38], 1.0
	v_fma_f64 v[43:44], -v[35:36], v[39:40], 1.0
	v_fma_f64 v[37:38], v[37:38], v[41:42], v[37:38]
	v_div_scale_f64 v[41:42], s3, v[31:32], v[25:26], v[31:32]
	v_fma_f64 v[39:40], v[39:40], v[43:44], v[39:40]
	v_mul_f64 v[43:44], v[45:46], v[37:38]
	v_mul_f64 v[47:48], v[41:42], v[39:40]
	v_fma_f64 v[33:34], -v[33:34], v[43:44], v[45:46]
	v_fma_f64 v[35:36], -v[35:36], v[47:48], v[41:42]
	v_div_fmas_f64 v[33:34], v[33:34], v[37:38], v[43:44]
	s_mov_b32 vcc_lo, s3
	v_div_fmas_f64 v[35:36], v[35:36], v[39:40], v[47:48]
	v_div_fixup_f64 v[29:30], v[33:34], v[27:28], v[29:30]
	v_div_fixup_f64 v[31:32], v[35:36], v[25:26], v[31:32]
	v_fma_f64 v[29:30], v[29:30], v[31:32], 1.0
	v_mul_f64 v[31:32], v[27:28], v[29:30]
.LBB0_7:
	s_or_b32 exec_lo, exec_lo, s8
	v_add_f64 v[27:28], v[9:10], v[15:16]
	v_mul_f64 v[33:34], v[15:16], v[15:16]
	v_mov_b32_e32 v29, 0
	v_mov_b32_e32 v35, 0
	;; [unrolled: 1-line block ×4, first 2 shown]
	s_and_saveexec_b32 s3, s7
	s_cbranch_execz .LBB0_9
; %bb.8:
	v_fma_f64 v[35:36], v[9:10], v[9:10], v[33:34]
	v_mul_f64 v[37:38], v[19:20], v[21:22]
	v_mul_f64 v[35:36], v[19:20], v[35:36]
	v_fma_f64 v[35:36], v[37:38], v[27:28], -v[35:36]
	v_div_scale_f64 v[37:38], null, v[25:26], v[25:26], v[35:36]
	v_rcp_f64_e32 v[39:40], v[37:38]
	v_fma_f64 v[41:42], -v[37:38], v[39:40], 1.0
	v_fma_f64 v[39:40], v[39:40], v[41:42], v[39:40]
	v_fma_f64 v[41:42], -v[37:38], v[39:40], 1.0
	v_fma_f64 v[39:40], v[39:40], v[41:42], v[39:40]
	v_div_scale_f64 v[41:42], vcc_lo, v[35:36], v[25:26], v[35:36]
	v_mul_f64 v[43:44], v[41:42], v[39:40]
	v_fma_f64 v[37:38], -v[37:38], v[43:44], v[41:42]
	v_div_fmas_f64 v[37:38], v[37:38], v[39:40], v[43:44]
	v_div_fixup_f64 v[35:36], v[37:38], v[25:26], v[35:36]
.LBB0_9:
	s_or_b32 exec_lo, exec_lo, s3
	s_load_dwordx2 s[4:5], s[4:5], 0x40
	s_or_b32 s3, s1, s2
	s_waitcnt lgkmcnt(0)
	v_ldexp_f64 v[25:26], s[4:5], 4
	v_mul_f64 v[31:32], s[4:5], v[31:32]
	s_or_b32 s4, s0, s3
	v_mul_f64 v[25:26], s[22:23], v[25:26]
	v_mul_f64 v[23:24], v[23:24], v[31:32]
	v_mul_f64 v[25:26], v[25:26], v[23:24]
	v_mul_f64 v[23:24], v[31:32], v[31:32]
	v_mul_f64 v[31:32], v[25:26], v[35:36]
	v_mad_u64_u32 v[35:36], null, 0x138800, v1, s[10:11]
	v_mad_u64_u32 v[35:36], null, 0xc80, v0, v[35:36]
	v_add_co_u32 v35, vcc_lo, v35, v5
	v_add_co_ci_u32_e64 v36, null, v36, v6, vcc_lo
	v_fma_f64 v[31:32], v[19:20], v[23:24], v[31:32]
	v_add_f64 v[19:20], v[21:22], v[15:16]
	global_store_dwordx2 v[35:36], v[31:32], off
	s_and_saveexec_b32 s3, s4
	s_cbranch_execz .LBB0_11
; %bb.10:
	v_fma_f64 v[29:30], v[21:22], v[21:22], v[33:34]
	v_mul_f64 v[31:32], v[13:14], v[9:10]
	v_add_f64 v[21:22], v[21:22], v[27:28]
	v_mul_f64 v[27:28], v[13:14], v[29:30]
	v_mul_f64 v[21:22], v[21:22], v[21:22]
	v_fma_f64 v[27:28], v[31:32], v[19:20], -v[27:28]
	v_div_scale_f64 v[29:30], null, v[21:22], v[21:22], v[27:28]
	v_rcp_f64_e32 v[31:32], v[29:30]
	v_fma_f64 v[33:34], -v[29:30], v[31:32], 1.0
	v_fma_f64 v[31:32], v[31:32], v[33:34], v[31:32]
	v_fma_f64 v[33:34], -v[29:30], v[31:32], 1.0
	v_fma_f64 v[31:32], v[31:32], v[33:34], v[31:32]
	v_div_scale_f64 v[33:34], vcc_lo, v[27:28], v[21:22], v[27:28]
	v_mul_f64 v[35:36], v[33:34], v[31:32]
	v_fma_f64 v[29:30], -v[29:30], v[35:36], v[33:34]
	v_div_fmas_f64 v[29:30], v[29:30], v[31:32], v[35:36]
	v_div_fixup_f64 v[29:30], v[29:30], v[21:22], v[27:28]
.LBB0_11:
	s_or_b32 exec_lo, exec_lo, s3
	v_mul_f64 v[21:22], v[25:26], v[29:30]
	v_mad_u64_u32 v[27:28], null, 0x138800, v1, s[12:13]
	s_or_b32 s0, s0, s2
	s_or_b32 s1, s1, s0
	v_fma_f64 v[13:14], v[13:14], v[23:24], v[21:22]
	v_mad_u64_u32 v[21:22], null, 0xc80, v0, v[27:28]
	v_add_co_u32 v21, vcc_lo, v21, v5
	v_add_co_ci_u32_e64 v22, null, v22, v6, vcc_lo
	v_mov_b32_e32 v5, 0
	v_mov_b32_e32 v6, 0
	global_store_dwordx2 v[21:22], v[13:14], off
	s_and_saveexec_b32 s0, s1
	s_cbranch_execz .LBB0_13
; %bb.12:
	v_mul_f64 v[5:6], v[7:8], v[15:16]
	v_mul_f64 v[13:14], v[7:8], v[17:18]
	v_add_f64 v[9:10], v[9:10], v[19:20]
	v_fma_f64 v[5:6], v[11:12], v[5:6], -v[13:14]
	v_mul_f64 v[9:10], v[9:10], v[9:10]
	v_div_scale_f64 v[11:12], null, v[9:10], v[9:10], v[5:6]
	v_rcp_f64_e32 v[13:14], v[11:12]
	v_fma_f64 v[15:16], -v[11:12], v[13:14], 1.0
	v_fma_f64 v[13:14], v[13:14], v[15:16], v[13:14]
	v_fma_f64 v[15:16], -v[11:12], v[13:14], 1.0
	v_fma_f64 v[13:14], v[13:14], v[15:16], v[13:14]
	v_div_scale_f64 v[15:16], vcc_lo, v[5:6], v[9:10], v[5:6]
	v_mul_f64 v[17:18], v[15:16], v[13:14]
	v_fma_f64 v[11:12], -v[11:12], v[17:18], v[15:16]
	v_div_fmas_f64 v[11:12], v[11:12], v[13:14], v[17:18]
	v_div_fixup_f64 v[5:6], v[11:12], v[9:10], v[5:6]
.LBB0_13:
	s_or_b32 exec_lo, exec_lo, s0
	v_mul_f64 v[5:6], v[25:26], v[5:6]
	v_fma_f64 v[5:6], v[7:8], v[23:24], v[5:6]
.LBB0_14:
	s_or_b32 exec_lo, exec_lo, s6
	s_waitcnt lgkmcnt(0)
	v_mad_u64_u32 v[7:8], null, 0x138800, v1, s[14:15]
	v_mad_u64_u32 v[0:1], null, 0xc80, v0, v[7:8]
	;; [unrolled: 1-line block ×3, first 2 shown]
	v_lshlrev_b64 v[2:3], 3, v[3:4]
	v_add_co_u32 v0, vcc_lo, v0, v2
	v_add_co_ci_u32_e64 v1, null, v1, v3, vcc_lo
	global_store_dwordx2 v[0:1], v[5:6], off
	s_endpgm
	.section	.rodata,"a",@progbits
	.p2align	6, 0x0
	.amdhsa_kernel _Z14calculateForcePA400_A400_dS1_S1_S1_dddddd
		.amdhsa_group_segment_fixed_size 0
		.amdhsa_private_segment_fixed_size 0
		.amdhsa_kernarg_size 336
		.amdhsa_user_sgpr_count 6
		.amdhsa_user_sgpr_private_segment_buffer 1
		.amdhsa_user_sgpr_dispatch_ptr 0
		.amdhsa_user_sgpr_queue_ptr 0
		.amdhsa_user_sgpr_kernarg_segment_ptr 1
		.amdhsa_user_sgpr_dispatch_id 0
		.amdhsa_user_sgpr_flat_scratch_init 0
		.amdhsa_user_sgpr_private_segment_size 0
		.amdhsa_wavefront_size32 1
		.amdhsa_uses_dynamic_stack 0
		.amdhsa_system_sgpr_private_segment_wavefront_offset 0
		.amdhsa_system_sgpr_workgroup_id_x 1
		.amdhsa_system_sgpr_workgroup_id_y 1
		.amdhsa_system_sgpr_workgroup_id_z 1
		.amdhsa_system_sgpr_workgroup_info 0
		.amdhsa_system_vgpr_workitem_id 2
		.amdhsa_next_free_vgpr 49
		.amdhsa_next_free_sgpr 24
		.amdhsa_reserve_vcc 1
		.amdhsa_reserve_flat_scratch 0
		.amdhsa_float_round_mode_32 0
		.amdhsa_float_round_mode_16_64 0
		.amdhsa_float_denorm_mode_32 3
		.amdhsa_float_denorm_mode_16_64 3
		.amdhsa_dx10_clamp 1
		.amdhsa_ieee_mode 1
		.amdhsa_fp16_overflow 0
		.amdhsa_workgroup_processor_mode 1
		.amdhsa_memory_ordered 1
		.amdhsa_forward_progress 1
		.amdhsa_shared_vgpr_count 0
		.amdhsa_exception_fp_ieee_invalid_op 0
		.amdhsa_exception_fp_denorm_src 0
		.amdhsa_exception_fp_ieee_div_zero 0
		.amdhsa_exception_fp_ieee_overflow 0
		.amdhsa_exception_fp_ieee_underflow 0
		.amdhsa_exception_fp_ieee_inexact 0
		.amdhsa_exception_int_div_zero 0
	.end_amdhsa_kernel
	.text
.Lfunc_end0:
	.size	_Z14calculateForcePA400_A400_dS1_S1_S1_dddddd, .Lfunc_end0-_Z14calculateForcePA400_A400_dS1_S1_S1_dddddd
                                        ; -- End function
	.set _Z14calculateForcePA400_A400_dS1_S1_S1_dddddd.num_vgpr, 49
	.set _Z14calculateForcePA400_A400_dS1_S1_S1_dddddd.num_agpr, 0
	.set _Z14calculateForcePA400_A400_dS1_S1_S1_dddddd.numbered_sgpr, 24
	.set _Z14calculateForcePA400_A400_dS1_S1_S1_dddddd.num_named_barrier, 0
	.set _Z14calculateForcePA400_A400_dS1_S1_S1_dddddd.private_seg_size, 0
	.set _Z14calculateForcePA400_A400_dS1_S1_S1_dddddd.uses_vcc, 1
	.set _Z14calculateForcePA400_A400_dS1_S1_S1_dddddd.uses_flat_scratch, 0
	.set _Z14calculateForcePA400_A400_dS1_S1_S1_dddddd.has_dyn_sized_stack, 0
	.set _Z14calculateForcePA400_A400_dS1_S1_S1_dddddd.has_recursion, 0
	.set _Z14calculateForcePA400_A400_dS1_S1_S1_dddddd.has_indirect_call, 0
	.section	.AMDGPU.csdata,"",@progbits
; Kernel info:
; codeLenInByte = 1912
; TotalNumSgprs: 26
; NumVgprs: 49
; ScratchSize: 0
; MemoryBound: 0
; FloatMode: 240
; IeeeMode: 1
; LDSByteSize: 0 bytes/workgroup (compile time only)
; SGPRBlocks: 0
; VGPRBlocks: 6
; NumSGPRsForWavesPerEU: 26
; NumVGPRsForWavesPerEU: 49
; Occupancy: 16
; WaveLimiterHint : 0
; COMPUTE_PGM_RSRC2:SCRATCH_EN: 0
; COMPUTE_PGM_RSRC2:USER_SGPR: 6
; COMPUTE_PGM_RSRC2:TRAP_HANDLER: 0
; COMPUTE_PGM_RSRC2:TGID_X_EN: 1
; COMPUTE_PGM_RSRC2:TGID_Y_EN: 1
; COMPUTE_PGM_RSRC2:TGID_Z_EN: 1
; COMPUTE_PGM_RSRC2:TIDIG_COMP_CNT: 2
	.text
	.protected	_Z9allenCahnPA400_A400_dS1_S1_S1_S1_S1_dddddddd ; -- Begin function _Z9allenCahnPA400_A400_dS1_S1_S1_S1_S1_dddddddd
	.globl	_Z9allenCahnPA400_A400_dS1_S1_S1_S1_S1_dddddddd
	.p2align	8
	.type	_Z9allenCahnPA400_A400_dS1_S1_S1_S1_S1_dddddddd,@function
_Z9allenCahnPA400_A400_dS1_S1_S1_S1_S1_dddddddd: ; @_Z9allenCahnPA400_A400_dS1_S1_S1_S1_S1_dddddddd
; %bb.0:
	s_load_dwordx2 s[0:1], s[4:5], 0x7c
	s_waitcnt lgkmcnt(0)
	s_lshr_b32 s2, s0, 16
	s_and_b32 s0, s0, 0xffff
	s_and_b32 s1, s1, 0xffff
	v_mad_u64_u32 v[3:4], null, s6, s0, v[0:1]
	v_mad_u64_u32 v[12:13], null, s7, s2, v[1:2]
	;; [unrolled: 1-line block ×3, first 2 shown]
	v_cmp_ne_u32_e64 s0, 0, v12
	v_cmp_ne_u32_e64 s2, 0, v3
	v_max3_u32 v0, v3, v12, v13
	v_cmp_ne_u32_e32 vcc_lo, 0, v13
	v_cmp_gt_u32_e64 s1, 0x18f, v0
	s_and_b32 s0, vcc_lo, s0
	s_and_b32 s0, s0, s1
	s_and_b32 s0, s2, s0
	s_and_saveexec_b32 s1, s0
	s_cbranch_execz .LBB1_10
; %bb.1:
	s_load_dwordx8 s[8:15], s[4:5], 0x0
	v_mov_b32_e32 v4, 0
	s_load_dwordx4 s[24:27], s[4:5], 0x30
	v_lshlrev_b64 v[4:5], 3, v[3:4]
	s_waitcnt lgkmcnt(0)
	v_mad_u64_u32 v[0:1], null, 0x138800, v13, s[10:11]
	v_mad_u64_u32 v[0:1], null, 0xc80, v12, v[0:1]
	v_add_co_u32 v0, vcc_lo, v0, v4
	v_add_co_ci_u32_e64 v1, null, v1, v5, vcc_lo
	v_add_co_u32 v2, vcc_lo, 0x138800, v0
	v_add_co_ci_u32_e64 v3, null, 0, v1, vcc_lo
	v_add_co_u32 v6, vcc_lo, 0xffec7800, v0
	v_add_co_ci_u32_e64 v7, null, -1, v1, vcc_lo
	v_add_co_u32 v8, vcc_lo, 0x800, v0
	v_add_co_ci_u32_e64 v9, null, 0, v1, vcc_lo
	v_add_co_u32 v10, vcc_lo, 0xfffff800, v0
	v_add_co_ci_u32_e64 v11, null, -1, v1, vcc_lo
	s_clause 0x5
	global_load_dwordx2 v[14:15], v[2:3], off
	global_load_dwordx2 v[16:17], v[6:7], off
	global_load_dwordx2 v[18:19], v[8:9], off offset:1152
	global_load_dwordx2 v[10:11], v[10:11], off offset:-1152
	global_load_dwordx2 v[20:21], v[0:1], off offset:8
	global_load_dwordx4 v[0:3], v[0:1], off offset:-8
	s_clause 0x1
	s_load_dwordx8 s[16:23], s[4:5], 0x40
	s_load_dwordx4 s[0:3], s[4:5], 0x60
	s_waitcnt lgkmcnt(0)
	v_add_f64 v[6:7], s[22:23], s[22:23]
	v_add_f64 v[8:9], s[0:1], s[0:1]
	s_waitcnt vmcnt(4)
	v_add_f64 v[14:15], v[14:15], -v[16:17]
	s_waitcnt vmcnt(2)
	v_add_f64 v[16:17], v[18:19], -v[10:11]
	v_add_f64 v[10:11], s[2:3], s[2:3]
	s_waitcnt vmcnt(0)
	v_add_f64 v[0:1], v[20:21], -v[0:1]
	v_div_scale_f64 v[18:19], null, v[6:7], v[6:7], v[14:15]
	v_div_scale_f64 v[20:21], null, v[8:9], v[8:9], v[16:17]
	;; [unrolled: 1-line block ×3, first 2 shown]
	v_div_scale_f64 v[36:37], vcc_lo, v[14:15], v[6:7], v[14:15]
	v_rcp_f64_e32 v[24:25], v[18:19]
	v_rcp_f64_e32 v[26:27], v[20:21]
	;; [unrolled: 1-line block ×3, first 2 shown]
	v_fma_f64 v[30:31], -v[18:19], v[24:25], 1.0
	v_fma_f64 v[32:33], -v[20:21], v[26:27], 1.0
	;; [unrolled: 1-line block ×3, first 2 shown]
	v_fma_f64 v[24:25], v[24:25], v[30:31], v[24:25]
	v_fma_f64 v[26:27], v[26:27], v[32:33], v[26:27]
	v_fma_f64 v[28:29], v[28:29], v[34:35], v[28:29]
	v_fma_f64 v[30:31], -v[18:19], v[24:25], 1.0
	v_fma_f64 v[32:33], -v[20:21], v[26:27], 1.0
	;; [unrolled: 1-line block ×3, first 2 shown]
	v_fma_f64 v[24:25], v[24:25], v[30:31], v[24:25]
	v_div_scale_f64 v[30:31], s0, v[16:17], v[8:9], v[16:17]
	v_fma_f64 v[26:27], v[26:27], v[32:33], v[26:27]
	v_div_scale_f64 v[32:33], s1, v[0:1], v[10:11], v[0:1]
	v_fma_f64 v[28:29], v[28:29], v[34:35], v[28:29]
	v_mul_f64 v[34:35], v[36:37], v[24:25]
	v_mul_f64 v[38:39], v[30:31], v[26:27]
	;; [unrolled: 1-line block ×3, first 2 shown]
	v_fma_f64 v[18:19], -v[18:19], v[34:35], v[36:37]
	v_fma_f64 v[20:21], -v[20:21], v[38:39], v[30:31]
	;; [unrolled: 1-line block ×3, first 2 shown]
	v_div_fmas_f64 v[18:19], v[18:19], v[24:25], v[34:35]
	s_mov_b32 vcc_lo, s0
	v_div_fmas_f64 v[20:21], v[20:21], v[26:27], v[38:39]
	s_mov_b32 vcc_lo, s1
	v_div_fmas_f64 v[22:23], v[22:23], v[28:29], v[40:41]
	v_div_fixup_f64 v[14:15], v[18:19], v[6:7], v[14:15]
	v_div_fixup_f64 v[16:17], v[20:21], v[8:9], v[16:17]
	;; [unrolled: 1-line block ×3, first 2 shown]
                                        ; implicit-def: $vgpr0_vgpr1
	v_cmp_eq_f64_e32 vcc_lo, 0, v[14:15]
	v_cmp_eq_f64_e64 s0, 0, v[16:17]
	v_cmp_eq_f64_e64 s1, 0, v[18:19]
	s_and_b32 s0, vcc_lo, s0
	s_and_b32 s1, s0, s1
	s_and_saveexec_b32 s0, s1
	s_xor_b32 s0, exec_lo, s0
; %bb.2:
	s_mov_b32 s2, 0xaaaaaaab
	s_mov_b32 s3, 0xbffaaaaa
	v_fma_f64 v[0:1], s[24:25], s[2:3], 1.0
; %bb.3:
	s_or_saveexec_b32 s2, s0
	v_mul_f64 v[28:29], v[16:17], v[16:17]
	v_mul_f64 v[22:23], v[14:15], v[14:15]
	;; [unrolled: 1-line block ×3, first 2 shown]
	v_fma_f64 v[16:17], 0xc0080000, s[24:25], 1.0
	v_mul_f64 v[20:21], s[24:25], 4.0
	s_load_dwordx4 s[4:7], s[4:5], 0x20
	v_mul_f64 v[26:27], v[28:29], v[28:29]
	v_fma_f64 v[28:29], v[14:15], v[14:15], v[28:29]
	s_xor_b32 exec_lo, exec_lo, s2
	s_cbranch_execz .LBB1_5
; %bb.4:
	v_fma_f64 v[0:1], v[22:23], v[22:23], v[26:27]
	v_fma_f64 v[14:15], v[18:19], v[18:19], v[28:29]
	v_div_scale_f64 v[30:31], null, v[16:17], v[16:17], v[20:21]
	v_div_scale_f64 v[42:43], vcc_lo, v[20:21], v[16:17], v[20:21]
	v_fma_f64 v[0:1], v[24:25], v[24:25], v[0:1]
	v_mul_f64 v[14:15], v[14:15], v[14:15]
	v_rcp_f64_e32 v[34:35], v[30:31]
	v_div_scale_f64 v[32:33], null, v[14:15], v[14:15], v[0:1]
	v_fma_f64 v[38:39], -v[30:31], v[34:35], 1.0
	v_rcp_f64_e32 v[36:37], v[32:33]
	v_fma_f64 v[34:35], v[34:35], v[38:39], v[34:35]
	v_fma_f64 v[40:41], -v[32:33], v[36:37], 1.0
	v_fma_f64 v[38:39], -v[30:31], v[34:35], 1.0
	v_fma_f64 v[36:37], v[36:37], v[40:41], v[36:37]
	v_fma_f64 v[34:35], v[34:35], v[38:39], v[34:35]
	v_div_scale_f64 v[38:39], s0, v[0:1], v[14:15], v[0:1]
	v_fma_f64 v[40:41], -v[32:33], v[36:37], 1.0
	v_fma_f64 v[36:37], v[36:37], v[40:41], v[36:37]
	v_mul_f64 v[40:41], v[42:43], v[34:35]
	v_mul_f64 v[44:45], v[38:39], v[36:37]
	v_fma_f64 v[30:31], -v[30:31], v[40:41], v[42:43]
	v_fma_f64 v[32:33], -v[32:33], v[44:45], v[38:39]
	v_div_fmas_f64 v[30:31], v[30:31], v[34:35], v[40:41]
	s_mov_b32 vcc_lo, s0
	v_div_fmas_f64 v[32:33], v[32:33], v[36:37], v[44:45]
	v_div_fixup_f64 v[30:31], v[30:31], v[16:17], v[20:21]
	v_div_fixup_f64 v[0:1], v[32:33], v[14:15], v[0:1]
	v_fma_f64 v[0:1], v[30:31], v[0:1], 1.0
	v_mul_f64 v[0:1], v[16:17], v[0:1]
.LBB1_5:
	s_or_b32 exec_lo, exec_lo, s2
                                        ; implicit-def: $vgpr14_vgpr15
	s_and_saveexec_b32 s0, s1
	s_xor_b32 s0, exec_lo, s0
	s_cbranch_execz .LBB1_7
; %bb.6:
	s_mov_b32 s2, 0xaaaaaaab
	s_mov_b32 s3, 0xbffaaaaa
                                        ; implicit-def: $vgpr16_vgpr17
                                        ; implicit-def: $vgpr20_vgpr21
                                        ; implicit-def: $vgpr22_vgpr23
                                        ; implicit-def: $vgpr26_vgpr27
                                        ; implicit-def: $vgpr24_vgpr25
                                        ; implicit-def: $vgpr18_vgpr19
                                        ; implicit-def: $vgpr28_vgpr29
	v_fma_f64 v[14:15], s[24:25], s[2:3], 1.0
	s_andn2_saveexec_b32 s1, s0
	s_cbranch_execnz .LBB1_8
	s_branch .LBB1_9
.LBB1_7:
	s_andn2_saveexec_b32 s1, s0
	s_cbranch_execz .LBB1_9
.LBB1_8:
	v_fma_f64 v[14:15], v[22:23], v[22:23], v[26:27]
	v_fma_f64 v[18:19], v[18:19], v[18:19], v[28:29]
	v_div_scale_f64 v[22:23], null, v[16:17], v[16:17], v[20:21]
	v_div_scale_f64 v[34:35], vcc_lo, v[20:21], v[16:17], v[20:21]
	v_fma_f64 v[14:15], v[24:25], v[24:25], v[14:15]
	v_mul_f64 v[18:19], v[18:19], v[18:19]
	v_rcp_f64_e32 v[26:27], v[22:23]
	v_div_scale_f64 v[24:25], null, v[18:19], v[18:19], v[14:15]
	v_fma_f64 v[30:31], -v[22:23], v[26:27], 1.0
	v_rcp_f64_e32 v[28:29], v[24:25]
	v_fma_f64 v[26:27], v[26:27], v[30:31], v[26:27]
	v_fma_f64 v[32:33], -v[24:25], v[28:29], 1.0
	v_fma_f64 v[30:31], -v[22:23], v[26:27], 1.0
	v_fma_f64 v[28:29], v[28:29], v[32:33], v[28:29]
	v_fma_f64 v[26:27], v[26:27], v[30:31], v[26:27]
	v_div_scale_f64 v[30:31], s0, v[14:15], v[18:19], v[14:15]
	v_fma_f64 v[32:33], -v[24:25], v[28:29], 1.0
	v_fma_f64 v[28:29], v[28:29], v[32:33], v[28:29]
	v_mul_f64 v[32:33], v[34:35], v[26:27]
	v_mul_f64 v[36:37], v[30:31], v[28:29]
	v_fma_f64 v[22:23], -v[22:23], v[32:33], v[34:35]
	v_fma_f64 v[24:25], -v[24:25], v[36:37], v[30:31]
	v_div_fmas_f64 v[22:23], v[22:23], v[26:27], v[32:33]
	s_mov_b32 vcc_lo, s0
	v_div_fmas_f64 v[24:25], v[24:25], v[28:29], v[36:37]
	v_div_fixup_f64 v[20:21], v[22:23], v[16:17], v[20:21]
	v_div_fixup_f64 v[14:15], v[24:25], v[18:19], v[14:15]
	v_fma_f64 v[14:15], v[20:21], v[14:15], 1.0
	v_mul_f64 v[14:15], v[16:17], v[14:15]
.LBB1_9:
	s_or_b32 exec_lo, exec_lo, s1
	v_mad_u64_u32 v[16:17], null, 0x138800, v13, 0
	v_mad_u64_u32 v[12:13], null, 0xc80, v12, 0
	v_mul_f64 v[0:1], v[0:1], v[14:15]
	v_add_co_u32 v18, vcc_lo, s14, v16
	v_add_co_ci_u32_e64 v19, null, s15, v17, vcc_lo
	v_add_co_u32 v18, vcc_lo, v18, v12
	v_add_co_ci_u32_e64 v19, null, v19, v13, vcc_lo
	s_waitcnt lgkmcnt(0)
	v_add_co_u32 v20, vcc_lo, s4, v16
	v_add_co_ci_u32_e64 v21, null, s5, v17, vcc_lo
	v_add_co_u32 v22, vcc_lo, v18, v4
	v_add_co_ci_u32_e64 v23, null, v19, v5, vcc_lo
	;; [unrolled: 2-line block ×5, first 2 shown]
	v_add_co_u32 v20, vcc_lo, 0xffec7800, v22
	v_add_co_ci_u32_e64 v21, null, -1, v23, vcc_lo
	v_add_co_u32 v22, vcc_lo, 0x800, v24
	v_add_co_ci_u32_e64 v23, null, 0, v25, vcc_lo
	v_add_co_u32 v24, vcc_lo, 0xfffff800, v24
	v_add_co_ci_u32_e64 v25, null, -1, v25, vcc_lo
	s_clause 0x1
	global_load_dwordx2 v[18:19], v[18:19], off
	global_load_dwordx2 v[20:21], v[20:21], off
	s_clause 0x1
	global_load_dwordx2 v[22:23], v[22:23], off offset:1152
	global_load_dwordx2 v[24:25], v[24:25], off offset:-1152
	v_add_co_u32 v26, vcc_lo, s6, v16
	v_add_co_ci_u32_e64 v27, null, s7, v17, vcc_lo
	v_mul_f64 v[0:1], s[16:17], v[0:1]
	v_add_co_u32 v26, vcc_lo, v26, v12
	v_add_co_ci_u32_e64 v27, null, v27, v13, vcc_lo
	v_add_co_u32 v26, vcc_lo, v26, v4
	v_add_co_ci_u32_e64 v27, null, v27, v5, vcc_lo
	s_clause 0x1
	global_load_dwordx2 v[28:29], v[26:27], off offset:8
	global_load_dwordx2 v[26:27], v[26:27], off offset:-8
	v_add_co_u32 v30, vcc_lo, s12, v16
	v_add_co_ci_u32_e64 v31, null, s13, v17, vcc_lo
	v_add_co_u32 v30, vcc_lo, v30, v12
	v_add_co_ci_u32_e64 v31, null, v31, v13, vcc_lo
	;; [unrolled: 2-line block ×3, first 2 shown]
	v_div_scale_f64 v[46:47], vcc_lo, s[20:21], v[0:1], s[20:21]
	global_load_dwordx2 v[30:31], v[30:31], off
	s_waitcnt vmcnt(5)
	v_add_f64 v[14:15], v[18:19], -v[20:21]
	v_div_scale_f64 v[20:21], null, v[0:1], v[0:1], s[20:21]
	s_waitcnt vmcnt(3)
	v_add_f64 v[18:19], v[22:23], -v[24:25]
	s_waitcnt vmcnt(1)
	v_add_f64 v[22:23], v[28:29], -v[26:27]
	v_div_scale_f64 v[24:25], null, v[6:7], v[6:7], v[14:15]
	v_rcp_f64_e32 v[28:29], v[20:21]
	v_div_scale_f64 v[26:27], null, v[8:9], v[8:9], v[18:19]
	v_div_scale_f64 v[48:49], s0, v[14:15], v[6:7], v[14:15]
	v_div_scale_f64 v[32:33], null, v[10:11], v[10:11], v[22:23]
	v_rcp_f64_e32 v[34:35], v[24:25]
	v_div_scale_f64 v[50:51], s2, v[22:23], v[10:11], v[22:23]
	v_rcp_f64_e32 v[36:37], v[26:27]
	v_fma_f64 v[38:39], -v[20:21], v[28:29], 1.0
	v_rcp_f64_e32 v[40:41], v[32:33]
	v_fma_f64 v[42:43], -v[24:25], v[34:35], 1.0
	v_fma_f64 v[28:29], v[28:29], v[38:39], v[28:29]
	v_fma_f64 v[44:45], -v[26:27], v[36:37], 1.0
	v_fma_f64 v[38:39], -v[32:33], v[40:41], 1.0
	v_fma_f64 v[34:35], v[34:35], v[42:43], v[34:35]
	v_fma_f64 v[42:43], -v[20:21], v[28:29], 1.0
	v_fma_f64 v[36:37], v[36:37], v[44:45], v[36:37]
	v_fma_f64 v[38:39], v[40:41], v[38:39], v[40:41]
	v_fma_f64 v[40:41], -v[24:25], v[34:35], 1.0
	v_fma_f64 v[28:29], v[28:29], v[42:43], v[28:29]
	v_fma_f64 v[44:45], -v[26:27], v[36:37], 1.0
	v_fma_f64 v[42:43], -v[32:33], v[38:39], 1.0
	v_fma_f64 v[34:35], v[34:35], v[40:41], v[34:35]
	v_div_scale_f64 v[40:41], s1, v[18:19], v[8:9], v[18:19]
	v_fma_f64 v[36:37], v[36:37], v[44:45], v[36:37]
	v_mul_f64 v[44:45], v[46:47], v[28:29]
	v_fma_f64 v[38:39], v[38:39], v[42:43], v[38:39]
	v_mul_f64 v[42:43], v[48:49], v[34:35]
	v_mul_f64 v[52:53], v[40:41], v[36:37]
	v_fma_f64 v[20:21], -v[20:21], v[44:45], v[46:47]
	v_mul_f64 v[46:47], v[50:51], v[38:39]
	v_fma_f64 v[24:25], -v[24:25], v[42:43], v[48:49]
	v_fma_f64 v[26:27], -v[26:27], v[52:53], v[40:41]
	v_div_fmas_f64 v[20:21], v[20:21], v[28:29], v[44:45]
	s_mov_b32 vcc_lo, s0
	v_fma_f64 v[28:29], -v[32:33], v[46:47], v[50:51]
	v_fma_f64 v[32:33], -v[2:3], v[2:3], 1.0
	v_div_fmas_f64 v[24:25], v[24:25], v[34:35], v[42:43]
	s_mov_b32 vcc_lo, s1
	v_div_fmas_f64 v[26:27], v[26:27], v[36:37], v[52:53]
	s_mov_b32 vcc_lo, s2
	v_div_fixup_f64 v[0:1], v[20:21], v[0:1], s[20:21]
	v_div_fmas_f64 v[28:29], v[28:29], v[38:39], v[46:47]
	v_div_fixup_f64 v[6:7], v[24:25], v[6:7], v[14:15]
	s_waitcnt vmcnt(0)
	v_mul_f64 v[14:15], s[18:19], v[30:31]
	v_div_fixup_f64 v[8:9], v[26:27], v[8:9], v[18:19]
	v_mul_f64 v[18:19], v[2:3], v[32:33]
	v_div_fixup_f64 v[10:11], v[28:29], v[10:11], v[22:23]
	v_add_f64 v[6:7], v[6:7], v[8:9]
	v_mul_f64 v[8:9], v[32:33], v[14:15]
	v_add_f64 v[6:7], v[6:7], v[10:11]
	v_fma_f64 v[8:9], v[32:33], v[8:9], -v[18:19]
	v_add_f64 v[6:7], v[6:7], -v[8:9]
	v_fma_f64 v[0:1], v[0:1], v[6:7], v[2:3]
	v_add_co_u32 v2, vcc_lo, s8, v16
	v_add_co_ci_u32_e64 v3, null, s9, v17, vcc_lo
	v_add_co_u32 v2, vcc_lo, v2, v12
	v_add_co_ci_u32_e64 v3, null, v3, v13, vcc_lo
	;; [unrolled: 2-line block ×3, first 2 shown]
	global_store_dwordx2 v[2:3], v[0:1], off
.LBB1_10:
	s_endpgm
	.section	.rodata,"a",@progbits
	.p2align	6, 0x0
	.amdhsa_kernel _Z9allenCahnPA400_A400_dS1_S1_S1_S1_S1_dddddddd
		.amdhsa_group_segment_fixed_size 0
		.amdhsa_private_segment_fixed_size 0
		.amdhsa_kernarg_size 368
		.amdhsa_user_sgpr_count 6
		.amdhsa_user_sgpr_private_segment_buffer 1
		.amdhsa_user_sgpr_dispatch_ptr 0
		.amdhsa_user_sgpr_queue_ptr 0
		.amdhsa_user_sgpr_kernarg_segment_ptr 1
		.amdhsa_user_sgpr_dispatch_id 0
		.amdhsa_user_sgpr_flat_scratch_init 0
		.amdhsa_user_sgpr_private_segment_size 0
		.amdhsa_wavefront_size32 1
		.amdhsa_uses_dynamic_stack 0
		.amdhsa_system_sgpr_private_segment_wavefront_offset 0
		.amdhsa_system_sgpr_workgroup_id_x 1
		.amdhsa_system_sgpr_workgroup_id_y 1
		.amdhsa_system_sgpr_workgroup_id_z 1
		.amdhsa_system_sgpr_workgroup_info 0
		.amdhsa_system_vgpr_workitem_id 2
		.amdhsa_next_free_vgpr 54
		.amdhsa_next_free_sgpr 28
		.amdhsa_reserve_vcc 1
		.amdhsa_reserve_flat_scratch 0
		.amdhsa_float_round_mode_32 0
		.amdhsa_float_round_mode_16_64 0
		.amdhsa_float_denorm_mode_32 3
		.amdhsa_float_denorm_mode_16_64 3
		.amdhsa_dx10_clamp 1
		.amdhsa_ieee_mode 1
		.amdhsa_fp16_overflow 0
		.amdhsa_workgroup_processor_mode 1
		.amdhsa_memory_ordered 1
		.amdhsa_forward_progress 1
		.amdhsa_shared_vgpr_count 0
		.amdhsa_exception_fp_ieee_invalid_op 0
		.amdhsa_exception_fp_denorm_src 0
		.amdhsa_exception_fp_ieee_div_zero 0
		.amdhsa_exception_fp_ieee_overflow 0
		.amdhsa_exception_fp_ieee_underflow 0
		.amdhsa_exception_fp_ieee_inexact 0
		.amdhsa_exception_int_div_zero 0
	.end_amdhsa_kernel
	.text
.Lfunc_end1:
	.size	_Z9allenCahnPA400_A400_dS1_S1_S1_S1_S1_dddddddd, .Lfunc_end1-_Z9allenCahnPA400_A400_dS1_S1_S1_S1_S1_dddddddd
                                        ; -- End function
	.set _Z9allenCahnPA400_A400_dS1_S1_S1_S1_S1_dddddddd.num_vgpr, 54
	.set _Z9allenCahnPA400_A400_dS1_S1_S1_S1_S1_dddddddd.num_agpr, 0
	.set _Z9allenCahnPA400_A400_dS1_S1_S1_S1_S1_dddddddd.numbered_sgpr, 28
	.set _Z9allenCahnPA400_A400_dS1_S1_S1_S1_S1_dddddddd.num_named_barrier, 0
	.set _Z9allenCahnPA400_A400_dS1_S1_S1_S1_S1_dddddddd.private_seg_size, 0
	.set _Z9allenCahnPA400_A400_dS1_S1_S1_S1_S1_dddddddd.uses_vcc, 1
	.set _Z9allenCahnPA400_A400_dS1_S1_S1_S1_S1_dddddddd.uses_flat_scratch, 0
	.set _Z9allenCahnPA400_A400_dS1_S1_S1_S1_S1_dddddddd.has_dyn_sized_stack, 0
	.set _Z9allenCahnPA400_A400_dS1_S1_S1_S1_S1_dddddddd.has_recursion, 0
	.set _Z9allenCahnPA400_A400_dS1_S1_S1_S1_S1_dddddddd.has_indirect_call, 0
	.section	.AMDGPU.csdata,"",@progbits
; Kernel info:
; codeLenInByte = 2212
; TotalNumSgprs: 30
; NumVgprs: 54
; ScratchSize: 0
; MemoryBound: 0
; FloatMode: 240
; IeeeMode: 1
; LDSByteSize: 0 bytes/workgroup (compile time only)
; SGPRBlocks: 0
; VGPRBlocks: 6
; NumSGPRsForWavesPerEU: 30
; NumVGPRsForWavesPerEU: 54
; Occupancy: 16
; WaveLimiterHint : 0
; COMPUTE_PGM_RSRC2:SCRATCH_EN: 0
; COMPUTE_PGM_RSRC2:USER_SGPR: 6
; COMPUTE_PGM_RSRC2:TRAP_HANDLER: 0
; COMPUTE_PGM_RSRC2:TGID_X_EN: 1
; COMPUTE_PGM_RSRC2:TGID_Y_EN: 1
; COMPUTE_PGM_RSRC2:TGID_Z_EN: 1
; COMPUTE_PGM_RSRC2:TIDIG_COMP_CNT: 2
	.text
	.protected	_Z21boundaryConditionsPhiPA400_A400_d ; -- Begin function _Z21boundaryConditionsPhiPA400_A400_d
	.globl	_Z21boundaryConditionsPhiPA400_A400_d
	.p2align	8
	.type	_Z21boundaryConditionsPhiPA400_A400_d,@function
_Z21boundaryConditionsPhiPA400_A400_d:  ; @_Z21boundaryConditionsPhiPA400_A400_d
; %bb.0:
	s_load_dwordx2 s[0:1], s[4:5], 0x14
	s_waitcnt lgkmcnt(0)
	s_lshr_b32 s2, s0, 16
	s_and_b32 s0, s0, 0xffff
	s_and_b32 s1, s1, 0xffff
	v_mad_u64_u32 v[3:4], null, s6, s0, v[0:1]
	v_mad_u64_u32 v[0:1], null, s7, s2, v[1:2]
	s_mov_b32 s0, exec_lo
	v_mad_u64_u32 v[5:6], null, s8, s1, v[2:3]
	v_max3_u32 v1, v3, v0, v5
	v_cmpx_gt_u32_e32 0x190, v1
	s_cbranch_execz .LBB2_22
; %bb.1:
	s_load_dwordx2 s[0:1], s[4:5], 0x0
	s_mov_b32 s2, exec_lo
	v_cmpx_lt_i32_e32 0x18e, v5
	s_xor_b32 s2, exec_lo, s2
	s_cbranch_execz .LBB2_3
; %bb.2:
	v_mov_b32_e32 v4, 0
	s_waitcnt lgkmcnt(0)
	v_mad_u64_u32 v[0:1], null, 0xc80, v0, s[0:1]
                                        ; implicit-def: $vgpr5_vgpr6
	v_lshlrev_b64 v[2:3], 3, v[3:4]
	v_add_co_u32 v0, vcc_lo, v0, v2
	v_add_co_ci_u32_e64 v3, null, v1, v3, vcc_lo
	v_mov_b32_e32 v1, 0xbff00000
	v_add_co_u32 v2, vcc_lo, 0x1e70f800, v0
	v_add_co_ci_u32_e64 v3, null, 0, v3, vcc_lo
	v_mov_b32_e32 v0, v4
	global_store_dwordx2 v[2:3], v[0:1], off
                                        ; implicit-def: $vgpr0_vgpr1
                                        ; implicit-def: $vgpr3_vgpr4
.LBB2_3:
	s_andn2_saveexec_b32 s2, s2
	s_cbranch_execz .LBB2_22
; %bb.4:
	s_mov_b32 s2, exec_lo
	v_cmpx_ne_u32_e32 0, v5
	s_xor_b32 s2, exec_lo, s2
	s_cbranch_execz .LBB2_20
; %bb.5:
	s_mov_b32 s3, exec_lo
	v_cmpx_lt_i32_e32 0x18e, v0
	s_xor_b32 s3, exec_lo, s3
	s_cbranch_execz .LBB2_7
; %bb.6:
	v_mov_b32_e32 v4, 0
	s_waitcnt lgkmcnt(0)
	v_mad_u64_u32 v[0:1], null, 0x138800, v5, s[0:1]
                                        ; implicit-def: $vgpr5_vgpr6
	v_lshlrev_b64 v[2:3], 3, v[3:4]
	v_add_co_u32 v0, vcc_lo, v0, v2
	v_add_co_ci_u32_e64 v3, null, v1, v3, vcc_lo
	v_mov_b32_e32 v1, 0xbff00000
	v_add_co_u32 v2, vcc_lo, 0x137800, v0
	v_add_co_ci_u32_e64 v3, null, 0, v3, vcc_lo
	v_mov_b32_e32 v0, v4
	global_store_dwordx2 v[2:3], v[0:1], off offset:896
                                        ; implicit-def: $vgpr3_vgpr4
                                        ; implicit-def: $vgpr0_vgpr1
.LBB2_7:
	s_andn2_saveexec_b32 s3, s3
	s_cbranch_execz .LBB2_19
; %bb.8:
	s_mov_b32 s4, exec_lo
	v_cmpx_ne_u32_e32 0, v0
	s_xor_b32 s4, exec_lo, s4
	s_cbranch_execz .LBB2_16
; %bb.9:
	s_mov_b32 s5, exec_lo
	v_cmpx_lt_i32_e32 0x18e, v3
	s_xor_b32 s5, exec_lo, s5
	s_cbranch_execz .LBB2_11
; %bb.10:
	s_waitcnt lgkmcnt(0)
	v_mad_u64_u32 v[1:2], null, 0x138800, v5, s[0:1]
	v_mov_b32_e32 v3, 0xbff00000
                                        ; implicit-def: $vgpr5_vgpr6
	v_mad_u64_u32 v[0:1], null, 0xc80, v0, v[1:2]
	v_mov_b32_e32 v2, 0
	v_add_co_u32 v0, vcc_lo, 0x800, v0
	v_add_co_ci_u32_e64 v1, null, 0, v1, vcc_lo
	global_store_dwordx2 v[0:1], v[2:3], off offset:1144
                                        ; implicit-def: $vgpr3_vgpr4
                                        ; implicit-def: $vgpr0_vgpr1
.LBB2_11:
	s_andn2_saveexec_b32 s5, s5
	s_cbranch_execz .LBB2_15
; %bb.12:
	s_mov_b32 s6, exec_lo
	v_cmpx_eq_u32_e32 0, v3
	s_cbranch_execz .LBB2_14
; %bb.13:
	s_waitcnt lgkmcnt(0)
	v_mad_u64_u32 v[1:2], null, 0x138800, v5, s[0:1]
	v_mov_b32_e32 v3, 0xbff00000
	v_mad_u64_u32 v[0:1], null, 0xc80, v0, v[1:2]
	v_mov_b32_e32 v2, 0
	global_store_dwordx2 v[0:1], v[2:3], off
.LBB2_14:
	s_or_b32 exec_lo, exec_lo, s6
.LBB2_15:
	s_or_b32 exec_lo, exec_lo, s5
                                        ; implicit-def: $vgpr5_vgpr6
                                        ; implicit-def: $vgpr3_vgpr4
.LBB2_16:
	s_andn2_saveexec_b32 s4, s4
	s_cbranch_execz .LBB2_18
; %bb.17:
	v_mov_b32_e32 v4, 0
	s_waitcnt lgkmcnt(0)
	v_mad_u64_u32 v[0:1], null, 0x138800, v5, s[0:1]
	v_mov_b32_e32 v5, 0xbff00000
	v_lshlrev_b64 v[2:3], 3, v[3:4]
	v_add_co_u32 v0, vcc_lo, v0, v2
	v_add_co_ci_u32_e64 v1, null, v1, v3, vcc_lo
	global_store_dwordx2 v[0:1], v[4:5], off
.LBB2_18:
	s_or_b32 exec_lo, exec_lo, s4
.LBB2_19:
	s_or_b32 exec_lo, exec_lo, s3
                                        ; implicit-def: $vgpr0_vgpr1
                                        ; implicit-def: $vgpr3_vgpr4
.LBB2_20:
	s_andn2_saveexec_b32 s2, s2
	s_cbranch_execz .LBB2_22
; %bb.21:
	v_mov_b32_e32 v4, 0
	s_waitcnt lgkmcnt(0)
	v_mad_u64_u32 v[0:1], null, 0xc80, v0, s[0:1]
	v_mov_b32_e32 v5, 0xbff00000
	v_lshlrev_b64 v[2:3], 3, v[3:4]
	v_add_co_u32 v0, vcc_lo, v0, v2
	v_add_co_ci_u32_e64 v1, null, v1, v3, vcc_lo
	global_store_dwordx2 v[0:1], v[4:5], off
.LBB2_22:
	s_endpgm
	.section	.rodata,"a",@progbits
	.p2align	6, 0x0
	.amdhsa_kernel _Z21boundaryConditionsPhiPA400_A400_d
		.amdhsa_group_segment_fixed_size 0
		.amdhsa_private_segment_fixed_size 0
		.amdhsa_kernarg_size 264
		.amdhsa_user_sgpr_count 6
		.amdhsa_user_sgpr_private_segment_buffer 1
		.amdhsa_user_sgpr_dispatch_ptr 0
		.amdhsa_user_sgpr_queue_ptr 0
		.amdhsa_user_sgpr_kernarg_segment_ptr 1
		.amdhsa_user_sgpr_dispatch_id 0
		.amdhsa_user_sgpr_flat_scratch_init 0
		.amdhsa_user_sgpr_private_segment_size 0
		.amdhsa_wavefront_size32 1
		.amdhsa_uses_dynamic_stack 0
		.amdhsa_system_sgpr_private_segment_wavefront_offset 0
		.amdhsa_system_sgpr_workgroup_id_x 1
		.amdhsa_system_sgpr_workgroup_id_y 1
		.amdhsa_system_sgpr_workgroup_id_z 1
		.amdhsa_system_sgpr_workgroup_info 0
		.amdhsa_system_vgpr_workitem_id 2
		.amdhsa_next_free_vgpr 7
		.amdhsa_next_free_sgpr 9
		.amdhsa_reserve_vcc 1
		.amdhsa_reserve_flat_scratch 0
		.amdhsa_float_round_mode_32 0
		.amdhsa_float_round_mode_16_64 0
		.amdhsa_float_denorm_mode_32 3
		.amdhsa_float_denorm_mode_16_64 3
		.amdhsa_dx10_clamp 1
		.amdhsa_ieee_mode 1
		.amdhsa_fp16_overflow 0
		.amdhsa_workgroup_processor_mode 1
		.amdhsa_memory_ordered 1
		.amdhsa_forward_progress 1
		.amdhsa_shared_vgpr_count 0
		.amdhsa_exception_fp_ieee_invalid_op 0
		.amdhsa_exception_fp_denorm_src 0
		.amdhsa_exception_fp_ieee_div_zero 0
		.amdhsa_exception_fp_ieee_overflow 0
		.amdhsa_exception_fp_ieee_underflow 0
		.amdhsa_exception_fp_ieee_inexact 0
		.amdhsa_exception_int_div_zero 0
	.end_amdhsa_kernel
	.text
.Lfunc_end2:
	.size	_Z21boundaryConditionsPhiPA400_A400_d, .Lfunc_end2-_Z21boundaryConditionsPhiPA400_A400_d
                                        ; -- End function
	.set _Z21boundaryConditionsPhiPA400_A400_d.num_vgpr, 7
	.set _Z21boundaryConditionsPhiPA400_A400_d.num_agpr, 0
	.set _Z21boundaryConditionsPhiPA400_A400_d.numbered_sgpr, 9
	.set _Z21boundaryConditionsPhiPA400_A400_d.num_named_barrier, 0
	.set _Z21boundaryConditionsPhiPA400_A400_d.private_seg_size, 0
	.set _Z21boundaryConditionsPhiPA400_A400_d.uses_vcc, 1
	.set _Z21boundaryConditionsPhiPA400_A400_d.uses_flat_scratch, 0
	.set _Z21boundaryConditionsPhiPA400_A400_d.has_dyn_sized_stack, 0
	.set _Z21boundaryConditionsPhiPA400_A400_d.has_recursion, 0
	.set _Z21boundaryConditionsPhiPA400_A400_d.has_indirect_call, 0
	.section	.AMDGPU.csdata,"",@progbits
; Kernel info:
; codeLenInByte = 656
; TotalNumSgprs: 11
; NumVgprs: 7
; ScratchSize: 0
; MemoryBound: 0
; FloatMode: 240
; IeeeMode: 1
; LDSByteSize: 0 bytes/workgroup (compile time only)
; SGPRBlocks: 0
; VGPRBlocks: 0
; NumSGPRsForWavesPerEU: 11
; NumVGPRsForWavesPerEU: 7
; Occupancy: 16
; WaveLimiterHint : 0
; COMPUTE_PGM_RSRC2:SCRATCH_EN: 0
; COMPUTE_PGM_RSRC2:USER_SGPR: 6
; COMPUTE_PGM_RSRC2:TRAP_HANDLER: 0
; COMPUTE_PGM_RSRC2:TGID_X_EN: 1
; COMPUTE_PGM_RSRC2:TGID_Y_EN: 1
; COMPUTE_PGM_RSRC2:TGID_Z_EN: 1
; COMPUTE_PGM_RSRC2:TIDIG_COMP_CNT: 2
	.text
	.protected	_Z15thermalEquationPA400_A400_dS1_S1_S1_ddddd ; -- Begin function _Z15thermalEquationPA400_A400_dS1_S1_S1_ddddd
	.globl	_Z15thermalEquationPA400_A400_dS1_S1_S1_ddddd
	.p2align	8
	.type	_Z15thermalEquationPA400_A400_dS1_S1_S1_ddddd,@function
_Z15thermalEquationPA400_A400_dS1_S1_S1_ddddd: ; @_Z15thermalEquationPA400_A400_dS1_S1_S1_ddddd
; %bb.0:
	s_load_dwordx2 s[0:1], s[4:5], 0x54
	s_waitcnt lgkmcnt(0)
	s_lshr_b32 s2, s0, 16
	s_and_b32 s0, s0, 0xffff
	s_and_b32 s1, s1, 0xffff
	v_mad_u64_u32 v[3:4], null, s6, s0, v[0:1]
	v_mad_u64_u32 v[0:1], null, s7, s2, v[1:2]
	;; [unrolled: 1-line block ×3, first 2 shown]
	v_cmp_ne_u32_e64 s0, 0, v0
	v_cmp_ne_u32_e64 s2, 0, v3
	v_max3_u32 v2, v3, v0, v1
	v_cmp_ne_u32_e32 vcc_lo, 0, v1
	v_cmp_gt_u32_e64 s1, 0x18f, v2
	s_and_b32 s0, vcc_lo, s0
	s_and_b32 s0, s0, s1
	s_and_b32 s0, s2, s0
	s_and_saveexec_b32 s1, s0
	s_cbranch_execz .LBB3_2
; %bb.1:
	s_load_dwordx16 s[8:23], s[4:5], 0x0
	v_mad_u64_u32 v[5:6], null, 0x138800, v1, 0
	v_mad_u64_u32 v[7:8], null, 0xc80, v0, 0
	v_mov_b32_e32 v4, 0
	s_load_dwordx2 s[0:1], s[4:5], 0x40
	v_lshlrev_b64 v[9:10], 3, v[3:4]
	s_waitcnt lgkmcnt(0)
	v_add_co_u32 v0, vcc_lo, s10, v5
	v_add_co_ci_u32_e64 v1, null, s11, v6, vcc_lo
	v_add_co_u32 v0, vcc_lo, v0, v7
	v_add_co_ci_u32_e64 v1, null, v1, v8, vcc_lo
	;; [unrolled: 2-line block ×4, first 2 shown]
	v_add_co_u32 v2, vcc_lo, 0xffec7800, v11
	v_add_co_ci_u32_e64 v3, null, -1, v12, vcc_lo
	v_add_co_u32 v13, vcc_lo, 0x800, v11
	v_add_co_ci_u32_e64 v14, null, 0, v12, vcc_lo
	v_add_co_u32 v15, vcc_lo, 0xfffff800, v11
	v_add_co_ci_u32_e64 v16, null, -1, v12, vcc_lo
	s_clause 0x5
	global_load_dwordx2 v[17:18], v[0:1], off
	global_load_dwordx2 v[19:20], v[2:3], off
	global_load_dwordx2 v[13:14], v[13:14], off offset:1152
	global_load_dwordx2 v[15:16], v[15:16], off offset:-1152
	global_load_dwordx4 v[0:3], v[11:12], off offset:-8
	global_load_dwordx2 v[11:12], v[11:12], off offset:8
	v_add_co_u32 v4, vcc_lo, s12, v5
	v_add_co_ci_u32_e64 v21, null, s13, v6, vcc_lo
	v_add_co_u32 v22, vcc_lo, s14, v5
	v_add_co_ci_u32_e64 v23, null, s15, v6, vcc_lo
	;; [unrolled: 2-line block ×6, first 2 shown]
	global_load_dwordx2 v[21:22], v[21:22], off
	global_load_dwordx2 v[23:24], v[23:24], off
	v_mul_f64 v[25:26], s[0:1], s[0:1]
	s_waitcnt vmcnt(6)
	v_add_f64 v[17:18], v[17:18], v[19:20]
	s_waitcnt vmcnt(4)
	v_add_f64 v[13:14], v[13:14], v[15:16]
	v_mul_f64 v[15:16], s[20:21], s[20:21]
	s_waitcnt vmcnt(2)
	v_add_f64 v[0:1], v[11:12], v[0:1]
	v_mul_f64 v[11:12], s[22:23], s[22:23]
	v_fma_f64 v[17:18], v[2:3], -2.0, v[17:18]
	v_fma_f64 v[13:14], v[2:3], -2.0, v[13:14]
	v_fma_f64 v[0:1], v[2:3], -2.0, v[0:1]
	v_div_scale_f64 v[19:20], null, v[15:16], v[15:16], v[17:18]
	v_div_scale_f64 v[27:28], null, v[11:12], v[11:12], v[13:14]
	;; [unrolled: 1-line block ×3, first 2 shown]
	v_div_scale_f64 v[41:42], vcc_lo, v[17:18], v[15:16], v[17:18]
	v_div_scale_f64 v[43:44], s0, v[13:14], v[11:12], v[13:14]
	v_rcp_f64_e32 v[29:30], v[19:20]
	v_rcp_f64_e32 v[33:34], v[27:28]
	;; [unrolled: 1-line block ×3, first 2 shown]
	v_fma_f64 v[37:38], -v[19:20], v[29:30], 1.0
	v_fma_f64 v[39:40], -v[27:28], v[33:34], 1.0
	v_fma_f64 v[29:30], v[29:30], v[37:38], v[29:30]
	v_fma_f64 v[37:38], -v[31:32], v[35:36], 1.0
	v_fma_f64 v[33:34], v[33:34], v[39:40], v[33:34]
	;; [unrolled: 2-line block ×5, first 2 shown]
	v_div_scale_f64 v[37:38], s1, v[0:1], v[25:26], v[0:1]
	v_mul_f64 v[45:46], v[41:42], v[29:30]
	v_fma_f64 v[35:36], v[35:36], v[39:40], v[35:36]
	v_mul_f64 v[39:40], v[43:44], v[33:34]
	v_fma_f64 v[19:20], -v[19:20], v[45:46], v[41:42]
	v_mul_f64 v[41:42], v[37:38], v[35:36]
	v_fma_f64 v[27:28], -v[27:28], v[39:40], v[43:44]
	v_div_fmas_f64 v[19:20], v[19:20], v[29:30], v[45:46]
	s_mov_b32 vcc_lo, s0
	v_fma_f64 v[29:30], -v[31:32], v[41:42], v[37:38]
	v_div_fmas_f64 v[27:28], v[27:28], v[33:34], v[39:40]
	s_mov_b32 vcc_lo, s1
	v_div_fixup_f64 v[15:16], v[19:20], v[15:16], v[17:18]
	v_div_fmas_f64 v[17:18], v[29:30], v[35:36], v[41:42]
	v_div_fixup_f64 v[11:12], v[27:28], v[11:12], v[13:14]
	s_waitcnt vmcnt(0)
	v_add_f64 v[13:14], v[21:22], -v[23:24]
	v_div_fixup_f64 v[0:1], v[17:18], v[25:26], v[0:1]
	v_add_f64 v[11:12], v[15:16], v[11:12]
	v_fma_f64 v[2:3], v[13:14], 0.5, v[2:3]
	v_mul_f64 v[13:14], s[16:17], s[18:19]
	v_add_f64 v[0:1], v[11:12], v[0:1]
	v_fma_f64 v[0:1], v[13:14], v[0:1], v[2:3]
	v_add_co_u32 v2, vcc_lo, s8, v5
	v_add_co_ci_u32_e64 v3, null, s9, v6, vcc_lo
	v_add_co_u32 v2, vcc_lo, v2, v7
	v_add_co_ci_u32_e64 v3, null, v3, v8, vcc_lo
	;; [unrolled: 2-line block ×3, first 2 shown]
	global_store_dwordx2 v[2:3], v[0:1], off
.LBB3_2:
	s_endpgm
	.section	.rodata,"a",@progbits
	.p2align	6, 0x0
	.amdhsa_kernel _Z15thermalEquationPA400_A400_dS1_S1_S1_ddddd
		.amdhsa_group_segment_fixed_size 0
		.amdhsa_private_segment_fixed_size 0
		.amdhsa_kernarg_size 328
		.amdhsa_user_sgpr_count 6
		.amdhsa_user_sgpr_private_segment_buffer 1
		.amdhsa_user_sgpr_dispatch_ptr 0
		.amdhsa_user_sgpr_queue_ptr 0
		.amdhsa_user_sgpr_kernarg_segment_ptr 1
		.amdhsa_user_sgpr_dispatch_id 0
		.amdhsa_user_sgpr_flat_scratch_init 0
		.amdhsa_user_sgpr_private_segment_size 0
		.amdhsa_wavefront_size32 1
		.amdhsa_uses_dynamic_stack 0
		.amdhsa_system_sgpr_private_segment_wavefront_offset 0
		.amdhsa_system_sgpr_workgroup_id_x 1
		.amdhsa_system_sgpr_workgroup_id_y 1
		.amdhsa_system_sgpr_workgroup_id_z 1
		.amdhsa_system_sgpr_workgroup_info 0
		.amdhsa_system_vgpr_workitem_id 2
		.amdhsa_next_free_vgpr 47
		.amdhsa_next_free_sgpr 24
		.amdhsa_reserve_vcc 1
		.amdhsa_reserve_flat_scratch 0
		.amdhsa_float_round_mode_32 0
		.amdhsa_float_round_mode_16_64 0
		.amdhsa_float_denorm_mode_32 3
		.amdhsa_float_denorm_mode_16_64 3
		.amdhsa_dx10_clamp 1
		.amdhsa_ieee_mode 1
		.amdhsa_fp16_overflow 0
		.amdhsa_workgroup_processor_mode 1
		.amdhsa_memory_ordered 1
		.amdhsa_forward_progress 1
		.amdhsa_shared_vgpr_count 0
		.amdhsa_exception_fp_ieee_invalid_op 0
		.amdhsa_exception_fp_denorm_src 0
		.amdhsa_exception_fp_ieee_div_zero 0
		.amdhsa_exception_fp_ieee_overflow 0
		.amdhsa_exception_fp_ieee_underflow 0
		.amdhsa_exception_fp_ieee_inexact 0
		.amdhsa_exception_int_div_zero 0
	.end_amdhsa_kernel
	.text
.Lfunc_end3:
	.size	_Z15thermalEquationPA400_A400_dS1_S1_S1_ddddd, .Lfunc_end3-_Z15thermalEquationPA400_A400_dS1_S1_S1_ddddd
                                        ; -- End function
	.set _Z15thermalEquationPA400_A400_dS1_S1_S1_ddddd.num_vgpr, 47
	.set _Z15thermalEquationPA400_A400_dS1_S1_S1_ddddd.num_agpr, 0
	.set _Z15thermalEquationPA400_A400_dS1_S1_S1_ddddd.numbered_sgpr, 24
	.set _Z15thermalEquationPA400_A400_dS1_S1_S1_ddddd.num_named_barrier, 0
	.set _Z15thermalEquationPA400_A400_dS1_S1_S1_ddddd.private_seg_size, 0
	.set _Z15thermalEquationPA400_A400_dS1_S1_S1_ddddd.uses_vcc, 1
	.set _Z15thermalEquationPA400_A400_dS1_S1_S1_ddddd.uses_flat_scratch, 0
	.set _Z15thermalEquationPA400_A400_dS1_S1_S1_ddddd.has_dyn_sized_stack, 0
	.set _Z15thermalEquationPA400_A400_dS1_S1_S1_ddddd.has_recursion, 0
	.set _Z15thermalEquationPA400_A400_dS1_S1_S1_ddddd.has_indirect_call, 0
	.section	.AMDGPU.csdata,"",@progbits
; Kernel info:
; codeLenInByte = 920
; TotalNumSgprs: 26
; NumVgprs: 47
; ScratchSize: 0
; MemoryBound: 0
; FloatMode: 240
; IeeeMode: 1
; LDSByteSize: 0 bytes/workgroup (compile time only)
; SGPRBlocks: 0
; VGPRBlocks: 5
; NumSGPRsForWavesPerEU: 26
; NumVGPRsForWavesPerEU: 47
; Occupancy: 16
; WaveLimiterHint : 0
; COMPUTE_PGM_RSRC2:SCRATCH_EN: 0
; COMPUTE_PGM_RSRC2:USER_SGPR: 6
; COMPUTE_PGM_RSRC2:TRAP_HANDLER: 0
; COMPUTE_PGM_RSRC2:TGID_X_EN: 1
; COMPUTE_PGM_RSRC2:TGID_Y_EN: 1
; COMPUTE_PGM_RSRC2:TGID_Z_EN: 1
; COMPUTE_PGM_RSRC2:TIDIG_COMP_CNT: 2
	.text
	.protected	_Z19boundaryConditionsUPA400_A400_dd ; -- Begin function _Z19boundaryConditionsUPA400_A400_dd
	.globl	_Z19boundaryConditionsUPA400_A400_dd
	.p2align	8
	.type	_Z19boundaryConditionsUPA400_A400_dd,@function
_Z19boundaryConditionsUPA400_A400_dd:   ; @_Z19boundaryConditionsUPA400_A400_dd
; %bb.0:
	s_load_dwordx2 s[0:1], s[4:5], 0x1c
	s_waitcnt lgkmcnt(0)
	s_lshr_b32 s2, s0, 16
	s_and_b32 s0, s0, 0xffff
	s_and_b32 s1, s1, 0xffff
	v_mad_u64_u32 v[3:4], null, s6, s0, v[0:1]
	v_mad_u64_u32 v[0:1], null, s7, s2, v[1:2]
	s_mov_b32 s0, exec_lo
	v_mad_u64_u32 v[5:6], null, s8, s1, v[2:3]
	v_max3_u32 v1, v3, v0, v5
	v_cmpx_gt_u32_e32 0x190, v1
	s_cbranch_execz .LBB4_22
; %bb.1:
	s_load_dwordx4 s[0:3], s[4:5], 0x0
	s_mov_b32 s4, exec_lo
	v_cmpx_lt_i32_e32 0x18e, v5
	s_xor_b32 s4, exec_lo, s4
	s_cbranch_execz .LBB4_3
; %bb.2:
	v_mov_b32_e32 v4, 0
	s_waitcnt lgkmcnt(0)
	v_mad_u64_u32 v[0:1], null, 0xc80, v0, s[0:1]
	s_xor_b32 s5, s3, 0x80000000
	v_mov_b32_e32 v5, s5
	v_lshlrev_b64 v[2:3], 3, v[3:4]
	v_mov_b32_e32 v4, s2
	v_add_co_u32 v0, vcc_lo, v0, v2
	v_add_co_ci_u32_e64 v1, null, v1, v3, vcc_lo
	v_add_co_u32 v0, vcc_lo, 0x1e70f800, v0
	v_add_co_ci_u32_e64 v1, null, 0, v1, vcc_lo
	global_store_dwordx2 v[0:1], v[4:5], off
                                        ; implicit-def: $vgpr0_vgpr1
                                        ; implicit-def: $vgpr3_vgpr4
                                        ; implicit-def: $vgpr5_vgpr6
.LBB4_3:
	s_andn2_saveexec_b32 s4, s4
	s_cbranch_execz .LBB4_22
; %bb.4:
	s_mov_b32 s4, exec_lo
	v_cmpx_ne_u32_e32 0, v5
	s_xor_b32 s4, exec_lo, s4
	s_cbranch_execz .LBB4_20
; %bb.5:
	s_mov_b32 s5, exec_lo
	v_cmpx_lt_i32_e32 0x18e, v0
	s_xor_b32 s5, exec_lo, s5
	s_cbranch_execz .LBB4_7
; %bb.6:
	v_mov_b32_e32 v4, 0
	s_waitcnt lgkmcnt(0)
	v_mad_u64_u32 v[0:1], null, 0x138800, v5, s[0:1]
	s_xor_b32 s6, s3, 0x80000000
	v_mov_b32_e32 v5, s6
	v_lshlrev_b64 v[2:3], 3, v[3:4]
	v_mov_b32_e32 v4, s2
	v_add_co_u32 v0, vcc_lo, v0, v2
	v_add_co_ci_u32_e64 v1, null, v1, v3, vcc_lo
	v_add_co_u32 v0, vcc_lo, 0x137800, v0
	v_add_co_ci_u32_e64 v1, null, 0, v1, vcc_lo
	global_store_dwordx2 v[0:1], v[4:5], off offset:896
                                        ; implicit-def: $vgpr5_vgpr6
                                        ; implicit-def: $vgpr3_vgpr4
                                        ; implicit-def: $vgpr0_vgpr1
.LBB4_7:
	s_andn2_saveexec_b32 s5, s5
	s_cbranch_execz .LBB4_19
; %bb.8:
	s_mov_b32 s6, exec_lo
	v_cmpx_ne_u32_e32 0, v0
	s_xor_b32 s6, exec_lo, s6
	s_cbranch_execz .LBB4_16
; %bb.9:
	s_mov_b32 s7, exec_lo
	v_cmpx_lt_i32_e32 0x18e, v3
	s_xor_b32 s7, exec_lo, s7
	s_cbranch_execz .LBB4_11
; %bb.10:
	s_waitcnt lgkmcnt(0)
	v_mad_u64_u32 v[1:2], null, 0x138800, v5, s[0:1]
	s_xor_b32 s8, s3, 0x80000000
                                        ; implicit-def: $vgpr5_vgpr6
	v_mov_b32_e32 v3, s8
	v_mad_u64_u32 v[0:1], null, 0xc80, v0, v[1:2]
	v_mov_b32_e32 v2, s2
	v_add_co_u32 v0, vcc_lo, 0x800, v0
	v_add_co_ci_u32_e64 v1, null, 0, v1, vcc_lo
	global_store_dwordx2 v[0:1], v[2:3], off offset:1144
                                        ; implicit-def: $vgpr3_vgpr4
                                        ; implicit-def: $vgpr0_vgpr1
.LBB4_11:
	s_andn2_saveexec_b32 s7, s7
	s_cbranch_execz .LBB4_15
; %bb.12:
	s_mov_b32 s8, exec_lo
	v_cmpx_eq_u32_e32 0, v3
	s_cbranch_execz .LBB4_14
; %bb.13:
	s_waitcnt lgkmcnt(0)
	v_mad_u64_u32 v[1:2], null, 0x138800, v5, s[0:1]
	s_xor_b32 s9, s3, 0x80000000
	v_mov_b32_e32 v3, s9
	v_mad_u64_u32 v[0:1], null, 0xc80, v0, v[1:2]
	v_mov_b32_e32 v2, s2
	global_store_dwordx2 v[0:1], v[2:3], off
.LBB4_14:
	s_or_b32 exec_lo, exec_lo, s8
.LBB4_15:
	s_or_b32 exec_lo, exec_lo, s7
                                        ; implicit-def: $vgpr5_vgpr6
                                        ; implicit-def: $vgpr3_vgpr4
.LBB4_16:
	s_andn2_saveexec_b32 s6, s6
	s_cbranch_execz .LBB4_18
; %bb.17:
	v_mov_b32_e32 v4, 0
	s_waitcnt lgkmcnt(0)
	v_mad_u64_u32 v[0:1], null, 0x138800, v5, s[0:1]
	s_xor_b32 s7, s3, 0x80000000
	v_mov_b32_e32 v5, s7
	v_lshlrev_b64 v[2:3], 3, v[3:4]
	v_mov_b32_e32 v4, s2
	v_add_co_u32 v0, vcc_lo, v0, v2
	v_add_co_ci_u32_e64 v1, null, v1, v3, vcc_lo
	global_store_dwordx2 v[0:1], v[4:5], off
.LBB4_18:
	s_or_b32 exec_lo, exec_lo, s6
.LBB4_19:
	s_or_b32 exec_lo, exec_lo, s5
                                        ; implicit-def: $vgpr0_vgpr1
                                        ; implicit-def: $vgpr3_vgpr4
.LBB4_20:
	s_andn2_saveexec_b32 s4, s4
	s_cbranch_execz .LBB4_22
; %bb.21:
	v_mov_b32_e32 v4, 0
	s_waitcnt lgkmcnt(0)
	v_mad_u64_u32 v[0:1], null, 0xc80, v0, s[0:1]
	s_xor_b32 s0, s3, 0x80000000
	v_mov_b32_e32 v5, s0
	v_lshlrev_b64 v[2:3], 3, v[3:4]
	v_mov_b32_e32 v4, s2
	v_add_co_u32 v0, vcc_lo, v0, v2
	v_add_co_ci_u32_e64 v1, null, v1, v3, vcc_lo
	global_store_dwordx2 v[0:1], v[4:5], off
.LBB4_22:
	s_endpgm
	.section	.rodata,"a",@progbits
	.p2align	6, 0x0
	.amdhsa_kernel _Z19boundaryConditionsUPA400_A400_dd
		.amdhsa_group_segment_fixed_size 0
		.amdhsa_private_segment_fixed_size 0
		.amdhsa_kernarg_size 272
		.amdhsa_user_sgpr_count 6
		.amdhsa_user_sgpr_private_segment_buffer 1
		.amdhsa_user_sgpr_dispatch_ptr 0
		.amdhsa_user_sgpr_queue_ptr 0
		.amdhsa_user_sgpr_kernarg_segment_ptr 1
		.amdhsa_user_sgpr_dispatch_id 0
		.amdhsa_user_sgpr_flat_scratch_init 0
		.amdhsa_user_sgpr_private_segment_size 0
		.amdhsa_wavefront_size32 1
		.amdhsa_uses_dynamic_stack 0
		.amdhsa_system_sgpr_private_segment_wavefront_offset 0
		.amdhsa_system_sgpr_workgroup_id_x 1
		.amdhsa_system_sgpr_workgroup_id_y 1
		.amdhsa_system_sgpr_workgroup_id_z 1
		.amdhsa_system_sgpr_workgroup_info 0
		.amdhsa_system_vgpr_workitem_id 2
		.amdhsa_next_free_vgpr 7
		.amdhsa_next_free_sgpr 10
		.amdhsa_reserve_vcc 1
		.amdhsa_reserve_flat_scratch 0
		.amdhsa_float_round_mode_32 0
		.amdhsa_float_round_mode_16_64 0
		.amdhsa_float_denorm_mode_32 3
		.amdhsa_float_denorm_mode_16_64 3
		.amdhsa_dx10_clamp 1
		.amdhsa_ieee_mode 1
		.amdhsa_fp16_overflow 0
		.amdhsa_workgroup_processor_mode 1
		.amdhsa_memory_ordered 1
		.amdhsa_forward_progress 1
		.amdhsa_shared_vgpr_count 0
		.amdhsa_exception_fp_ieee_invalid_op 0
		.amdhsa_exception_fp_denorm_src 0
		.amdhsa_exception_fp_ieee_div_zero 0
		.amdhsa_exception_fp_ieee_overflow 0
		.amdhsa_exception_fp_ieee_underflow 0
		.amdhsa_exception_fp_ieee_inexact 0
		.amdhsa_exception_int_div_zero 0
	.end_amdhsa_kernel
	.text
.Lfunc_end4:
	.size	_Z19boundaryConditionsUPA400_A400_dd, .Lfunc_end4-_Z19boundaryConditionsUPA400_A400_dd
                                        ; -- End function
	.set _Z19boundaryConditionsUPA400_A400_dd.num_vgpr, 7
	.set _Z19boundaryConditionsUPA400_A400_dd.num_agpr, 0
	.set _Z19boundaryConditionsUPA400_A400_dd.numbered_sgpr, 10
	.set _Z19boundaryConditionsUPA400_A400_dd.num_named_barrier, 0
	.set _Z19boundaryConditionsUPA400_A400_dd.private_seg_size, 0
	.set _Z19boundaryConditionsUPA400_A400_dd.uses_vcc, 1
	.set _Z19boundaryConditionsUPA400_A400_dd.uses_flat_scratch, 0
	.set _Z19boundaryConditionsUPA400_A400_dd.has_dyn_sized_stack, 0
	.set _Z19boundaryConditionsUPA400_A400_dd.has_recursion, 0
	.set _Z19boundaryConditionsUPA400_A400_dd.has_indirect_call, 0
	.section	.AMDGPU.csdata,"",@progbits
; Kernel info:
; codeLenInByte = 688
; TotalNumSgprs: 12
; NumVgprs: 7
; ScratchSize: 0
; MemoryBound: 0
; FloatMode: 240
; IeeeMode: 1
; LDSByteSize: 0 bytes/workgroup (compile time only)
; SGPRBlocks: 0
; VGPRBlocks: 0
; NumSGPRsForWavesPerEU: 12
; NumVGPRsForWavesPerEU: 7
; Occupancy: 16
; WaveLimiterHint : 0
; COMPUTE_PGM_RSRC2:SCRATCH_EN: 0
; COMPUTE_PGM_RSRC2:USER_SGPR: 6
; COMPUTE_PGM_RSRC2:TRAP_HANDLER: 0
; COMPUTE_PGM_RSRC2:TGID_X_EN: 1
; COMPUTE_PGM_RSRC2:TGID_Y_EN: 1
; COMPUTE_PGM_RSRC2:TGID_Z_EN: 1
; COMPUTE_PGM_RSRC2:TIDIG_COMP_CNT: 2
	.text
	.protected	_Z8swapGridPA400_A400_dS1_ ; -- Begin function _Z8swapGridPA400_A400_dS1_
	.globl	_Z8swapGridPA400_A400_dS1_
	.p2align	8
	.type	_Z8swapGridPA400_A400_dS1_,@function
_Z8swapGridPA400_A400_dS1_:             ; @_Z8swapGridPA400_A400_dS1_
; %bb.0:
	s_load_dwordx2 s[0:1], s[4:5], 0x1c
	s_waitcnt lgkmcnt(0)
	s_lshr_b32 s2, s0, 16
	s_and_b32 s0, s0, 0xffff
	s_and_b32 s1, s1, 0xffff
	v_mad_u64_u32 v[3:4], null, s6, s0, v[0:1]
	v_mad_u64_u32 v[0:1], null, s7, s2, v[1:2]
	s_mov_b32 s0, exec_lo
	v_mad_u64_u32 v[1:2], null, s8, s1, v[2:3]
	v_max3_u32 v2, v3, v0, v1
	v_cmpx_gt_u32_e32 0x190, v2
	s_cbranch_execz .LBB5_2
; %bb.1:
	s_load_dwordx4 s[0:3], s[4:5], 0x0
	v_mov_b32_e32 v4, 0
	v_lshlrev_b64 v[3:4], 3, v[3:4]
	s_waitcnt lgkmcnt(0)
	v_mad_u64_u32 v[5:6], null, 0x138800, v1, s[2:3]
	v_mad_u64_u32 v[1:2], null, 0x138800, v1, s[0:1]
	;; [unrolled: 1-line block ×4, first 2 shown]
	v_add_co_u32 v5, vcc_lo, v5, v3
	v_add_co_ci_u32_e64 v6, null, v6, v4, vcc_lo
	v_add_co_u32 v0, vcc_lo, v0, v3
	v_add_co_ci_u32_e64 v1, null, v1, v4, vcc_lo
	global_load_dwordx2 v[2:3], v[5:6], off
	global_load_dwordx2 v[7:8], v[0:1], off
	s_waitcnt vmcnt(1)
	global_store_dwordx2 v[0:1], v[2:3], off
	s_waitcnt vmcnt(0)
	global_store_dwordx2 v[5:6], v[7:8], off
.LBB5_2:
	s_endpgm
	.section	.rodata,"a",@progbits
	.p2align	6, 0x0
	.amdhsa_kernel _Z8swapGridPA400_A400_dS1_
		.amdhsa_group_segment_fixed_size 0
		.amdhsa_private_segment_fixed_size 0
		.amdhsa_kernarg_size 272
		.amdhsa_user_sgpr_count 6
		.amdhsa_user_sgpr_private_segment_buffer 1
		.amdhsa_user_sgpr_dispatch_ptr 0
		.amdhsa_user_sgpr_queue_ptr 0
		.amdhsa_user_sgpr_kernarg_segment_ptr 1
		.amdhsa_user_sgpr_dispatch_id 0
		.amdhsa_user_sgpr_flat_scratch_init 0
		.amdhsa_user_sgpr_private_segment_size 0
		.amdhsa_wavefront_size32 1
		.amdhsa_uses_dynamic_stack 0
		.amdhsa_system_sgpr_private_segment_wavefront_offset 0
		.amdhsa_system_sgpr_workgroup_id_x 1
		.amdhsa_system_sgpr_workgroup_id_y 1
		.amdhsa_system_sgpr_workgroup_id_z 1
		.amdhsa_system_sgpr_workgroup_info 0
		.amdhsa_system_vgpr_workitem_id 2
		.amdhsa_next_free_vgpr 9
		.amdhsa_next_free_sgpr 9
		.amdhsa_reserve_vcc 1
		.amdhsa_reserve_flat_scratch 0
		.amdhsa_float_round_mode_32 0
		.amdhsa_float_round_mode_16_64 0
		.amdhsa_float_denorm_mode_32 3
		.amdhsa_float_denorm_mode_16_64 3
		.amdhsa_dx10_clamp 1
		.amdhsa_ieee_mode 1
		.amdhsa_fp16_overflow 0
		.amdhsa_workgroup_processor_mode 1
		.amdhsa_memory_ordered 1
		.amdhsa_forward_progress 1
		.amdhsa_shared_vgpr_count 0
		.amdhsa_exception_fp_ieee_invalid_op 0
		.amdhsa_exception_fp_denorm_src 0
		.amdhsa_exception_fp_ieee_div_zero 0
		.amdhsa_exception_fp_ieee_overflow 0
		.amdhsa_exception_fp_ieee_underflow 0
		.amdhsa_exception_fp_ieee_inexact 0
		.amdhsa_exception_int_div_zero 0
	.end_amdhsa_kernel
	.text
.Lfunc_end5:
	.size	_Z8swapGridPA400_A400_dS1_, .Lfunc_end5-_Z8swapGridPA400_A400_dS1_
                                        ; -- End function
	.set _Z8swapGridPA400_A400_dS1_.num_vgpr, 9
	.set _Z8swapGridPA400_A400_dS1_.num_agpr, 0
	.set _Z8swapGridPA400_A400_dS1_.numbered_sgpr, 9
	.set _Z8swapGridPA400_A400_dS1_.num_named_barrier, 0
	.set _Z8swapGridPA400_A400_dS1_.private_seg_size, 0
	.set _Z8swapGridPA400_A400_dS1_.uses_vcc, 1
	.set _Z8swapGridPA400_A400_dS1_.uses_flat_scratch, 0
	.set _Z8swapGridPA400_A400_dS1_.has_dyn_sized_stack, 0
	.set _Z8swapGridPA400_A400_dS1_.has_recursion, 0
	.set _Z8swapGridPA400_A400_dS1_.has_indirect_call, 0
	.section	.AMDGPU.csdata,"",@progbits
; Kernel info:
; codeLenInByte = 228
; TotalNumSgprs: 11
; NumVgprs: 9
; ScratchSize: 0
; MemoryBound: 0
; FloatMode: 240
; IeeeMode: 1
; LDSByteSize: 0 bytes/workgroup (compile time only)
; SGPRBlocks: 0
; VGPRBlocks: 1
; NumSGPRsForWavesPerEU: 11
; NumVGPRsForWavesPerEU: 9
; Occupancy: 16
; WaveLimiterHint : 0
; COMPUTE_PGM_RSRC2:SCRATCH_EN: 0
; COMPUTE_PGM_RSRC2:USER_SGPR: 6
; COMPUTE_PGM_RSRC2:TRAP_HANDLER: 0
; COMPUTE_PGM_RSRC2:TGID_X_EN: 1
; COMPUTE_PGM_RSRC2:TGID_Y_EN: 1
; COMPUTE_PGM_RSRC2:TGID_Z_EN: 1
; COMPUTE_PGM_RSRC2:TIDIG_COMP_CNT: 2
	.text
	.p2alignl 6, 3214868480
	.fill 48, 4, 3214868480
	.section	.AMDGPU.gpr_maximums,"",@progbits
	.set amdgpu.max_num_vgpr, 0
	.set amdgpu.max_num_agpr, 0
	.set amdgpu.max_num_sgpr, 0
	.text
	.type	__hip_cuid_dcf875d5636eac64,@object ; @__hip_cuid_dcf875d5636eac64
	.section	.bss,"aw",@nobits
	.globl	__hip_cuid_dcf875d5636eac64
__hip_cuid_dcf875d5636eac64:
	.byte	0                               ; 0x0
	.size	__hip_cuid_dcf875d5636eac64, 1

	.ident	"AMD clang version 22.0.0git (https://github.com/RadeonOpenCompute/llvm-project roc-7.2.4 26084 f58b06dce1f9c15707c5f808fd002e18c2accf7e)"
	.section	".note.GNU-stack","",@progbits
	.addrsig
	.addrsig_sym __hip_cuid_dcf875d5636eac64
	.amdgpu_metadata
---
amdhsa.kernels:
  - .args:
      - .address_space:  global
        .offset:         0
        .size:           8
        .value_kind:     global_buffer
      - .address_space:  global
        .offset:         8
        .size:           8
        .value_kind:     global_buffer
      - .address_space:  global
        .offset:         16
        .size:           8
        .value_kind:     global_buffer
      - .address_space:  global
        .offset:         24
        .size:           8
        .value_kind:     global_buffer
      - .offset:         32
        .size:           8
        .value_kind:     by_value
      - .offset:         40
        .size:           8
        .value_kind:     by_value
      - .offset:         48
        .size:           8
        .value_kind:     by_value
      - .offset:         56
        .size:           8
        .value_kind:     by_value
      - .offset:         64
        .size:           8
        .value_kind:     by_value
      - .offset:         72
        .size:           8
        .value_kind:     by_value
      - .offset:         80
        .size:           4
        .value_kind:     hidden_block_count_x
      - .offset:         84
        .size:           4
        .value_kind:     hidden_block_count_y
      - .offset:         88
        .size:           4
        .value_kind:     hidden_block_count_z
      - .offset:         92
        .size:           2
        .value_kind:     hidden_group_size_x
      - .offset:         94
        .size:           2
        .value_kind:     hidden_group_size_y
      - .offset:         96
        .size:           2
        .value_kind:     hidden_group_size_z
      - .offset:         98
        .size:           2
        .value_kind:     hidden_remainder_x
      - .offset:         100
        .size:           2
        .value_kind:     hidden_remainder_y
      - .offset:         102
        .size:           2
        .value_kind:     hidden_remainder_z
      - .offset:         120
        .size:           8
        .value_kind:     hidden_global_offset_x
      - .offset:         128
        .size:           8
        .value_kind:     hidden_global_offset_y
      - .offset:         136
        .size:           8
        .value_kind:     hidden_global_offset_z
      - .offset:         144
        .size:           2
        .value_kind:     hidden_grid_dims
    .group_segment_fixed_size: 0
    .kernarg_segment_align: 8
    .kernarg_segment_size: 336
    .language:       OpenCL C
    .language_version:
      - 2
      - 0
    .max_flat_workgroup_size: 1024
    .name:           _Z14calculateForcePA400_A400_dS1_S1_S1_dddddd
    .private_segment_fixed_size: 0
    .sgpr_count:     26
    .sgpr_spill_count: 0
    .symbol:         _Z14calculateForcePA400_A400_dS1_S1_S1_dddddd.kd
    .uniform_work_group_size: 1
    .uses_dynamic_stack: false
    .vgpr_count:     49
    .vgpr_spill_count: 0
    .wavefront_size: 32
    .workgroup_processor_mode: 1
  - .args:
      - .address_space:  global
        .offset:         0
        .size:           8
        .value_kind:     global_buffer
      - .address_space:  global
        .offset:         8
        .size:           8
        .value_kind:     global_buffer
      - .address_space:  global
        .offset:         16
        .size:           8
        .value_kind:     global_buffer
      - .address_space:  global
        .offset:         24
        .size:           8
        .value_kind:     global_buffer
      - .address_space:  global
        .offset:         32
        .size:           8
        .value_kind:     global_buffer
      - .address_space:  global
        .offset:         40
        .size:           8
        .value_kind:     global_buffer
      - .offset:         48
        .size:           8
        .value_kind:     by_value
      - .offset:         56
        .size:           8
        .value_kind:     by_value
      - .offset:         64
        .size:           8
        .value_kind:     by_value
      - .offset:         72
        .size:           8
        .value_kind:     by_value
      - .offset:         80
        .size:           8
        .value_kind:     by_value
      - .offset:         88
        .size:           8
        .value_kind:     by_value
      - .offset:         96
        .size:           8
        .value_kind:     by_value
      - .offset:         104
        .size:           8
        .value_kind:     by_value
      - .offset:         112
        .size:           4
        .value_kind:     hidden_block_count_x
      - .offset:         116
        .size:           4
        .value_kind:     hidden_block_count_y
      - .offset:         120
        .size:           4
        .value_kind:     hidden_block_count_z
      - .offset:         124
        .size:           2
        .value_kind:     hidden_group_size_x
      - .offset:         126
        .size:           2
        .value_kind:     hidden_group_size_y
      - .offset:         128
        .size:           2
        .value_kind:     hidden_group_size_z
      - .offset:         130
        .size:           2
        .value_kind:     hidden_remainder_x
      - .offset:         132
        .size:           2
        .value_kind:     hidden_remainder_y
      - .offset:         134
        .size:           2
        .value_kind:     hidden_remainder_z
      - .offset:         152
        .size:           8
        .value_kind:     hidden_global_offset_x
      - .offset:         160
        .size:           8
        .value_kind:     hidden_global_offset_y
      - .offset:         168
        .size:           8
        .value_kind:     hidden_global_offset_z
      - .offset:         176
        .size:           2
        .value_kind:     hidden_grid_dims
    .group_segment_fixed_size: 0
    .kernarg_segment_align: 8
    .kernarg_segment_size: 368
    .language:       OpenCL C
    .language_version:
      - 2
      - 0
    .max_flat_workgroup_size: 1024
    .name:           _Z9allenCahnPA400_A400_dS1_S1_S1_S1_S1_dddddddd
    .private_segment_fixed_size: 0
    .sgpr_count:     30
    .sgpr_spill_count: 0
    .symbol:         _Z9allenCahnPA400_A400_dS1_S1_S1_S1_S1_dddddddd.kd
    .uniform_work_group_size: 1
    .uses_dynamic_stack: false
    .vgpr_count:     54
    .vgpr_spill_count: 0
    .wavefront_size: 32
    .workgroup_processor_mode: 1
  - .args:
      - .address_space:  global
        .offset:         0
        .size:           8
        .value_kind:     global_buffer
      - .offset:         8
        .size:           4
        .value_kind:     hidden_block_count_x
      - .offset:         12
        .size:           4
        .value_kind:     hidden_block_count_y
      - .offset:         16
        .size:           4
        .value_kind:     hidden_block_count_z
      - .offset:         20
        .size:           2
        .value_kind:     hidden_group_size_x
      - .offset:         22
        .size:           2
        .value_kind:     hidden_group_size_y
      - .offset:         24
        .size:           2
        .value_kind:     hidden_group_size_z
      - .offset:         26
        .size:           2
        .value_kind:     hidden_remainder_x
      - .offset:         28
        .size:           2
        .value_kind:     hidden_remainder_y
      - .offset:         30
        .size:           2
        .value_kind:     hidden_remainder_z
      - .offset:         48
        .size:           8
        .value_kind:     hidden_global_offset_x
      - .offset:         56
        .size:           8
        .value_kind:     hidden_global_offset_y
      - .offset:         64
        .size:           8
        .value_kind:     hidden_global_offset_z
      - .offset:         72
        .size:           2
        .value_kind:     hidden_grid_dims
    .group_segment_fixed_size: 0
    .kernarg_segment_align: 8
    .kernarg_segment_size: 264
    .language:       OpenCL C
    .language_version:
      - 2
      - 0
    .max_flat_workgroup_size: 1024
    .name:           _Z21boundaryConditionsPhiPA400_A400_d
    .private_segment_fixed_size: 0
    .sgpr_count:     11
    .sgpr_spill_count: 0
    .symbol:         _Z21boundaryConditionsPhiPA400_A400_d.kd
    .uniform_work_group_size: 1
    .uses_dynamic_stack: false
    .vgpr_count:     7
    .vgpr_spill_count: 0
    .wavefront_size: 32
    .workgroup_processor_mode: 1
  - .args:
      - .address_space:  global
        .offset:         0
        .size:           8
        .value_kind:     global_buffer
      - .address_space:  global
        .offset:         8
        .size:           8
        .value_kind:     global_buffer
      - .address_space:  global
        .offset:         16
        .size:           8
        .value_kind:     global_buffer
      - .address_space:  global
        .offset:         24
        .size:           8
        .value_kind:     global_buffer
      - .offset:         32
        .size:           8
        .value_kind:     by_value
      - .offset:         40
        .size:           8
        .value_kind:     by_value
      - .offset:         48
        .size:           8
        .value_kind:     by_value
      - .offset:         56
        .size:           8
        .value_kind:     by_value
      - .offset:         64
        .size:           8
        .value_kind:     by_value
      - .offset:         72
        .size:           4
        .value_kind:     hidden_block_count_x
      - .offset:         76
        .size:           4
        .value_kind:     hidden_block_count_y
      - .offset:         80
        .size:           4
        .value_kind:     hidden_block_count_z
      - .offset:         84
        .size:           2
        .value_kind:     hidden_group_size_x
      - .offset:         86
        .size:           2
        .value_kind:     hidden_group_size_y
      - .offset:         88
        .size:           2
        .value_kind:     hidden_group_size_z
      - .offset:         90
        .size:           2
        .value_kind:     hidden_remainder_x
      - .offset:         92
        .size:           2
        .value_kind:     hidden_remainder_y
      - .offset:         94
        .size:           2
        .value_kind:     hidden_remainder_z
      - .offset:         112
        .size:           8
        .value_kind:     hidden_global_offset_x
      - .offset:         120
        .size:           8
        .value_kind:     hidden_global_offset_y
      - .offset:         128
        .size:           8
        .value_kind:     hidden_global_offset_z
      - .offset:         136
        .size:           2
        .value_kind:     hidden_grid_dims
    .group_segment_fixed_size: 0
    .kernarg_segment_align: 8
    .kernarg_segment_size: 328
    .language:       OpenCL C
    .language_version:
      - 2
      - 0
    .max_flat_workgroup_size: 1024
    .name:           _Z15thermalEquationPA400_A400_dS1_S1_S1_ddddd
    .private_segment_fixed_size: 0
    .sgpr_count:     26
    .sgpr_spill_count: 0
    .symbol:         _Z15thermalEquationPA400_A400_dS1_S1_S1_ddddd.kd
    .uniform_work_group_size: 1
    .uses_dynamic_stack: false
    .vgpr_count:     47
    .vgpr_spill_count: 0
    .wavefront_size: 32
    .workgroup_processor_mode: 1
  - .args:
      - .address_space:  global
        .offset:         0
        .size:           8
        .value_kind:     global_buffer
      - .offset:         8
        .size:           8
        .value_kind:     by_value
      - .offset:         16
        .size:           4
        .value_kind:     hidden_block_count_x
      - .offset:         20
        .size:           4
        .value_kind:     hidden_block_count_y
      - .offset:         24
        .size:           4
        .value_kind:     hidden_block_count_z
      - .offset:         28
        .size:           2
        .value_kind:     hidden_group_size_x
      - .offset:         30
        .size:           2
        .value_kind:     hidden_group_size_y
      - .offset:         32
        .size:           2
        .value_kind:     hidden_group_size_z
      - .offset:         34
        .size:           2
        .value_kind:     hidden_remainder_x
      - .offset:         36
        .size:           2
        .value_kind:     hidden_remainder_y
      - .offset:         38
        .size:           2
        .value_kind:     hidden_remainder_z
      - .offset:         56
        .size:           8
        .value_kind:     hidden_global_offset_x
      - .offset:         64
        .size:           8
        .value_kind:     hidden_global_offset_y
      - .offset:         72
        .size:           8
        .value_kind:     hidden_global_offset_z
      - .offset:         80
        .size:           2
        .value_kind:     hidden_grid_dims
    .group_segment_fixed_size: 0
    .kernarg_segment_align: 8
    .kernarg_segment_size: 272
    .language:       OpenCL C
    .language_version:
      - 2
      - 0
    .max_flat_workgroup_size: 1024
    .name:           _Z19boundaryConditionsUPA400_A400_dd
    .private_segment_fixed_size: 0
    .sgpr_count:     12
    .sgpr_spill_count: 0
    .symbol:         _Z19boundaryConditionsUPA400_A400_dd.kd
    .uniform_work_group_size: 1
    .uses_dynamic_stack: false
    .vgpr_count:     7
    .vgpr_spill_count: 0
    .wavefront_size: 32
    .workgroup_processor_mode: 1
  - .args:
      - .address_space:  global
        .offset:         0
        .size:           8
        .value_kind:     global_buffer
      - .address_space:  global
        .offset:         8
        .size:           8
        .value_kind:     global_buffer
      - .offset:         16
        .size:           4
        .value_kind:     hidden_block_count_x
      - .offset:         20
        .size:           4
        .value_kind:     hidden_block_count_y
      - .offset:         24
        .size:           4
        .value_kind:     hidden_block_count_z
      - .offset:         28
        .size:           2
        .value_kind:     hidden_group_size_x
      - .offset:         30
        .size:           2
        .value_kind:     hidden_group_size_y
      - .offset:         32
        .size:           2
        .value_kind:     hidden_group_size_z
      - .offset:         34
        .size:           2
        .value_kind:     hidden_remainder_x
      - .offset:         36
        .size:           2
        .value_kind:     hidden_remainder_y
      - .offset:         38
        .size:           2
        .value_kind:     hidden_remainder_z
      - .offset:         56
        .size:           8
        .value_kind:     hidden_global_offset_x
      - .offset:         64
        .size:           8
        .value_kind:     hidden_global_offset_y
      - .offset:         72
        .size:           8
        .value_kind:     hidden_global_offset_z
      - .offset:         80
        .size:           2
        .value_kind:     hidden_grid_dims
    .group_segment_fixed_size: 0
    .kernarg_segment_align: 8
    .kernarg_segment_size: 272
    .language:       OpenCL C
    .language_version:
      - 2
      - 0
    .max_flat_workgroup_size: 1024
    .name:           _Z8swapGridPA400_A400_dS1_
    .private_segment_fixed_size: 0
    .sgpr_count:     11
    .sgpr_spill_count: 0
    .symbol:         _Z8swapGridPA400_A400_dS1_.kd
    .uniform_work_group_size: 1
    .uses_dynamic_stack: false
    .vgpr_count:     9
    .vgpr_spill_count: 0
    .wavefront_size: 32
    .workgroup_processor_mode: 1
amdhsa.target:   amdgcn-amd-amdhsa--gfx1030
amdhsa.version:
  - 1
  - 2
...

	.end_amdgpu_metadata
